;; amdgpu-corpus repo=ROCm/rocFFT kind=compiled arch=gfx1030 opt=O3
	.text
	.amdgcn_target "amdgcn-amd-amdhsa--gfx1030"
	.amdhsa_code_object_version 6
	.protected	fft_rtc_back_len3200_factors_10_10_4_4_2_wgs_160_tpt_160_halfLds_sp_op_CI_CI_unitstride_sbrr_C2R_dirReg ; -- Begin function fft_rtc_back_len3200_factors_10_10_4_4_2_wgs_160_tpt_160_halfLds_sp_op_CI_CI_unitstride_sbrr_C2R_dirReg
	.globl	fft_rtc_back_len3200_factors_10_10_4_4_2_wgs_160_tpt_160_halfLds_sp_op_CI_CI_unitstride_sbrr_C2R_dirReg
	.p2align	8
	.type	fft_rtc_back_len3200_factors_10_10_4_4_2_wgs_160_tpt_160_halfLds_sp_op_CI_CI_unitstride_sbrr_C2R_dirReg,@function
fft_rtc_back_len3200_factors_10_10_4_4_2_wgs_160_tpt_160_halfLds_sp_op_CI_CI_unitstride_sbrr_C2R_dirReg: ; @fft_rtc_back_len3200_factors_10_10_4_4_2_wgs_160_tpt_160_halfLds_sp_op_CI_CI_unitstride_sbrr_C2R_dirReg
; %bb.0:
	s_clause 0x2
	s_load_dwordx4 s[12:15], s[4:5], 0x0
	s_load_dwordx4 s[8:11], s[4:5], 0x58
	;; [unrolled: 1-line block ×3, first 2 shown]
	v_mul_u32_u24_e32 v1, 0x19a, v0
	v_mov_b32_e32 v3, 0
	v_add_nc_u32_sdwa v5, s6, v1 dst_sel:DWORD dst_unused:UNUSED_PAD src0_sel:DWORD src1_sel:WORD_1
	v_mov_b32_e32 v1, 0
	v_mov_b32_e32 v6, v3
	v_mov_b32_e32 v2, 0
	s_waitcnt lgkmcnt(0)
	v_cmp_lt_u64_e64 s0, s[14:15], 2
	s_and_b32 vcc_lo, exec_lo, s0
	s_cbranch_vccnz .LBB0_8
; %bb.1:
	s_load_dwordx2 s[0:1], s[4:5], 0x10
	v_mov_b32_e32 v1, 0
	v_mov_b32_e32 v2, 0
	s_add_u32 s2, s18, 8
	s_addc_u32 s3, s19, 0
	s_add_u32 s6, s16, 8
	s_addc_u32 s7, s17, 0
	v_mov_b32_e32 v33, v2
	v_mov_b32_e32 v32, v1
	s_mov_b64 s[22:23], 1
	s_waitcnt lgkmcnt(0)
	s_add_u32 s20, s0, 8
	s_addc_u32 s21, s1, 0
.LBB0_2:                                ; =>This Inner Loop Header: Depth=1
	s_load_dwordx2 s[24:25], s[20:21], 0x0
                                        ; implicit-def: $vgpr36_vgpr37
	s_mov_b32 s0, exec_lo
	s_waitcnt lgkmcnt(0)
	v_or_b32_e32 v4, s25, v6
	v_cmpx_ne_u64_e32 0, v[3:4]
	s_xor_b32 s1, exec_lo, s0
	s_cbranch_execz .LBB0_4
; %bb.3:                                ;   in Loop: Header=BB0_2 Depth=1
	v_cvt_f32_u32_e32 v4, s24
	v_cvt_f32_u32_e32 v7, s25
	s_sub_u32 s0, 0, s24
	s_subb_u32 s26, 0, s25
	v_fmac_f32_e32 v4, 0x4f800000, v7
	v_rcp_f32_e32 v4, v4
	v_mul_f32_e32 v4, 0x5f7ffffc, v4
	v_mul_f32_e32 v7, 0x2f800000, v4
	v_trunc_f32_e32 v7, v7
	v_fmac_f32_e32 v4, 0xcf800000, v7
	v_cvt_u32_f32_e32 v7, v7
	v_cvt_u32_f32_e32 v4, v4
	v_mul_lo_u32 v8, s0, v7
	v_mul_hi_u32 v9, s0, v4
	v_mul_lo_u32 v10, s26, v4
	v_add_nc_u32_e32 v8, v9, v8
	v_mul_lo_u32 v9, s0, v4
	v_add_nc_u32_e32 v8, v8, v10
	v_mul_hi_u32 v10, v4, v9
	v_mul_lo_u32 v11, v4, v8
	v_mul_hi_u32 v12, v4, v8
	v_mul_hi_u32 v13, v7, v9
	v_mul_lo_u32 v9, v7, v9
	v_mul_hi_u32 v14, v7, v8
	v_mul_lo_u32 v8, v7, v8
	v_add_co_u32 v10, vcc_lo, v10, v11
	v_add_co_ci_u32_e32 v11, vcc_lo, 0, v12, vcc_lo
	v_add_co_u32 v9, vcc_lo, v10, v9
	v_add_co_ci_u32_e32 v9, vcc_lo, v11, v13, vcc_lo
	v_add_co_ci_u32_e32 v10, vcc_lo, 0, v14, vcc_lo
	v_add_co_u32 v8, vcc_lo, v9, v8
	v_add_co_ci_u32_e32 v9, vcc_lo, 0, v10, vcc_lo
	v_add_co_u32 v4, vcc_lo, v4, v8
	v_add_co_ci_u32_e32 v7, vcc_lo, v7, v9, vcc_lo
	v_mul_hi_u32 v8, s0, v4
	v_mul_lo_u32 v10, s26, v4
	v_mul_lo_u32 v9, s0, v7
	v_add_nc_u32_e32 v8, v8, v9
	v_mul_lo_u32 v9, s0, v4
	v_add_nc_u32_e32 v8, v8, v10
	v_mul_hi_u32 v10, v4, v9
	v_mul_lo_u32 v11, v4, v8
	v_mul_hi_u32 v12, v4, v8
	v_mul_hi_u32 v13, v7, v9
	v_mul_lo_u32 v9, v7, v9
	v_mul_hi_u32 v14, v7, v8
	v_mul_lo_u32 v8, v7, v8
	v_add_co_u32 v10, vcc_lo, v10, v11
	v_add_co_ci_u32_e32 v11, vcc_lo, 0, v12, vcc_lo
	v_add_co_u32 v9, vcc_lo, v10, v9
	v_add_co_ci_u32_e32 v9, vcc_lo, v11, v13, vcc_lo
	v_add_co_ci_u32_e32 v10, vcc_lo, 0, v14, vcc_lo
	v_add_co_u32 v8, vcc_lo, v9, v8
	v_add_co_ci_u32_e32 v9, vcc_lo, 0, v10, vcc_lo
	v_add_co_u32 v4, vcc_lo, v4, v8
	v_add_co_ci_u32_e32 v11, vcc_lo, v7, v9, vcc_lo
	v_mul_hi_u32 v13, v5, v4
	v_mad_u64_u32 v[9:10], null, v6, v4, 0
	v_mad_u64_u32 v[7:8], null, v5, v11, 0
	;; [unrolled: 1-line block ×3, first 2 shown]
	v_add_co_u32 v4, vcc_lo, v13, v7
	v_add_co_ci_u32_e32 v7, vcc_lo, 0, v8, vcc_lo
	v_add_co_u32 v4, vcc_lo, v4, v9
	v_add_co_ci_u32_e32 v4, vcc_lo, v7, v10, vcc_lo
	v_add_co_ci_u32_e32 v7, vcc_lo, 0, v12, vcc_lo
	v_add_co_u32 v4, vcc_lo, v4, v11
	v_add_co_ci_u32_e32 v9, vcc_lo, 0, v7, vcc_lo
	v_mul_lo_u32 v10, s25, v4
	v_mad_u64_u32 v[7:8], null, s24, v4, 0
	v_mul_lo_u32 v11, s24, v9
	v_sub_co_u32 v7, vcc_lo, v5, v7
	v_add3_u32 v8, v8, v11, v10
	v_sub_nc_u32_e32 v10, v6, v8
	v_subrev_co_ci_u32_e64 v10, s0, s25, v10, vcc_lo
	v_add_co_u32 v11, s0, v4, 2
	v_add_co_ci_u32_e64 v12, s0, 0, v9, s0
	v_sub_co_u32 v13, s0, v7, s24
	v_sub_co_ci_u32_e32 v8, vcc_lo, v6, v8, vcc_lo
	v_subrev_co_ci_u32_e64 v10, s0, 0, v10, s0
	v_cmp_le_u32_e32 vcc_lo, s24, v13
	v_cmp_eq_u32_e64 s0, s25, v8
	v_cndmask_b32_e64 v13, 0, -1, vcc_lo
	v_cmp_le_u32_e32 vcc_lo, s25, v10
	v_cndmask_b32_e64 v14, 0, -1, vcc_lo
	v_cmp_le_u32_e32 vcc_lo, s24, v7
	;; [unrolled: 2-line block ×3, first 2 shown]
	v_cndmask_b32_e64 v15, 0, -1, vcc_lo
	v_cmp_eq_u32_e32 vcc_lo, s25, v10
	v_cndmask_b32_e64 v7, v15, v7, s0
	v_cndmask_b32_e32 v10, v14, v13, vcc_lo
	v_add_co_u32 v13, vcc_lo, v4, 1
	v_add_co_ci_u32_e32 v14, vcc_lo, 0, v9, vcc_lo
	v_cmp_ne_u32_e32 vcc_lo, 0, v10
	v_cndmask_b32_e32 v8, v14, v12, vcc_lo
	v_cndmask_b32_e32 v10, v13, v11, vcc_lo
	v_cmp_ne_u32_e32 vcc_lo, 0, v7
	v_cndmask_b32_e32 v37, v9, v8, vcc_lo
	v_cndmask_b32_e32 v36, v4, v10, vcc_lo
.LBB0_4:                                ;   in Loop: Header=BB0_2 Depth=1
	s_andn2_saveexec_b32 s0, s1
	s_cbranch_execz .LBB0_6
; %bb.5:                                ;   in Loop: Header=BB0_2 Depth=1
	v_cvt_f32_u32_e32 v4, s24
	s_sub_i32 s1, 0, s24
	v_mov_b32_e32 v37, v3
	v_rcp_iflag_f32_e32 v4, v4
	v_mul_f32_e32 v4, 0x4f7ffffe, v4
	v_cvt_u32_f32_e32 v4, v4
	v_mul_lo_u32 v7, s1, v4
	v_mul_hi_u32 v7, v4, v7
	v_add_nc_u32_e32 v4, v4, v7
	v_mul_hi_u32 v4, v5, v4
	v_mul_lo_u32 v7, v4, s24
	v_add_nc_u32_e32 v8, 1, v4
	v_sub_nc_u32_e32 v7, v5, v7
	v_subrev_nc_u32_e32 v9, s24, v7
	v_cmp_le_u32_e32 vcc_lo, s24, v7
	v_cndmask_b32_e32 v7, v7, v9, vcc_lo
	v_cndmask_b32_e32 v4, v4, v8, vcc_lo
	v_cmp_le_u32_e32 vcc_lo, s24, v7
	v_add_nc_u32_e32 v8, 1, v4
	v_cndmask_b32_e32 v36, v4, v8, vcc_lo
.LBB0_6:                                ;   in Loop: Header=BB0_2 Depth=1
	s_or_b32 exec_lo, exec_lo, s0
	v_mul_lo_u32 v4, v37, s24
	v_mul_lo_u32 v9, v36, s25
	s_load_dwordx2 s[0:1], s[6:7], 0x0
	v_mad_u64_u32 v[7:8], null, v36, s24, 0
	s_load_dwordx2 s[24:25], s[2:3], 0x0
	s_add_u32 s22, s22, 1
	s_addc_u32 s23, s23, 0
	s_add_u32 s2, s2, 8
	s_addc_u32 s3, s3, 0
	s_add_u32 s6, s6, 8
	v_add3_u32 v4, v8, v9, v4
	v_sub_co_u32 v5, vcc_lo, v5, v7
	s_addc_u32 s7, s7, 0
	s_add_u32 s20, s20, 8
	v_sub_co_ci_u32_e32 v4, vcc_lo, v6, v4, vcc_lo
	s_addc_u32 s21, s21, 0
	s_waitcnt lgkmcnt(0)
	v_mul_lo_u32 v6, s0, v4
	v_mul_lo_u32 v7, s1, v5
	v_mad_u64_u32 v[1:2], null, s0, v5, v[1:2]
	v_mul_lo_u32 v4, s24, v4
	v_mul_lo_u32 v8, s25, v5
	v_mad_u64_u32 v[32:33], null, s24, v5, v[32:33]
	v_cmp_ge_u64_e64 s0, s[22:23], s[14:15]
	v_add3_u32 v2, v7, v2, v6
	v_add3_u32 v33, v8, v33, v4
	s_and_b32 vcc_lo, exec_lo, s0
	s_cbranch_vccnz .LBB0_9
; %bb.7:                                ;   in Loop: Header=BB0_2 Depth=1
	v_mov_b32_e32 v5, v36
	v_mov_b32_e32 v6, v37
	s_branch .LBB0_2
.LBB0_8:
	v_mov_b32_e32 v33, v2
	v_mov_b32_e32 v37, v6
	;; [unrolled: 1-line block ×4, first 2 shown]
.LBB0_9:
	s_load_dwordx2 s[0:1], s[4:5], 0x28
	v_mul_hi_u32 v5, 0x199999a, v0
	s_lshl_b64 s[4:5], s[14:15], 3
                                        ; implicit-def: $vgpr34
                                        ; implicit-def: $vgpr3_vgpr4
	s_add_u32 s2, s18, s4
	s_addc_u32 s3, s19, s5
	s_waitcnt lgkmcnt(0)
	v_cmp_gt_u64_e32 vcc_lo, s[0:1], v[36:37]
	v_cmp_le_u64_e64 s0, s[0:1], v[36:37]
	s_and_saveexec_b32 s1, s0
	s_xor_b32 s0, exec_lo, s1
; %bb.10:
	v_mul_u32_u24_e32 v1, 0xa0, v5
	v_mov_b32_e32 v35, 0
                                        ; implicit-def: $vgpr5
	v_sub_nc_u32_e32 v34, v0, v1
                                        ; implicit-def: $vgpr0
                                        ; implicit-def: $vgpr1_vgpr2
	v_mov_b32_e32 v3, v34
	v_mov_b32_e32 v4, v35
; %bb.11:
	s_or_saveexec_b32 s1, s0
	s_load_dwordx2 s[2:3], s[2:3], 0x0
	s_xor_b32 exec_lo, exec_lo, s1
	s_cbranch_execz .LBB0_15
; %bb.12:
	s_add_u32 s4, s16, s4
	s_addc_u32 s5, s17, s5
	v_mul_u32_u24_e32 v5, 0xa0, v5
	s_load_dwordx2 s[4:5], s[4:5], 0x0
	v_lshlrev_b64 v[1:2], 3, v[1:2]
	v_sub_nc_u32_e32 v34, v0, v5
	v_lshlrev_b32_e32 v52, 3, v34
	v_or_b32_e32 v35, 0x5000, v52
	s_waitcnt lgkmcnt(0)
	v_mul_lo_u32 v6, s5, v36
	v_mul_lo_u32 v7, s4, v37
	v_mad_u64_u32 v[3:4], null, s4, v36, 0
	v_add3_u32 v4, v4, v7, v6
	v_lshlrev_b64 v[3:4], 3, v[3:4]
	v_add_co_u32 v0, s0, s8, v3
	v_add_co_ci_u32_e64 v3, s0, s9, v4, s0
	v_or_b32_e32 v4, 0x2800, v52
	v_add_co_u32 v0, s0, v0, v1
	v_add_co_ci_u32_e64 v1, s0, v3, v2, s0
	v_add_co_u32 v2, s0, v0, v52
	v_add_co_ci_u32_e64 v3, s0, 0, v1, s0
	;; [unrolled: 2-line block ×9, first 2 shown]
	s_clause 0xb
	global_load_dwordx2 v[18:19], v[2:3], off
	global_load_dwordx2 v[20:21], v[2:3], off offset:1280
	global_load_dwordx2 v[22:23], v[6:7], off offset:512
	;; [unrolled: 1-line block ×7, first 2 shown]
	global_load_dwordx2 v[26:27], v[4:5], off
	global_load_dwordx2 v[14:15], v[14:15], off offset:1280
	global_load_dwordx2 v[28:29], v[16:17], off offset:512
	;; [unrolled: 1-line block ×3, first 2 shown]
	v_add_co_u32 v4, s0, 0x3800, v2
	v_add_co_ci_u32_e64 v5, s0, 0, v3, s0
	v_add_co_u32 v30, s0, 0x4000, v2
	v_add_co_ci_u32_e64 v31, s0, 0, v3, s0
	;; [unrolled: 2-line block ×6, first 2 shown]
	s_clause 0x7
	global_load_dwordx2 v[44:45], v[4:5], off offset:1024
	global_load_dwordx2 v[46:47], v[30:31], off offset:256
	;; [unrolled: 1-line block ×4, first 2 shown]
	global_load_dwordx2 v[40:41], v[40:41], off
	global_load_dwordx2 v[42:43], v[42:43], off offset:1280
	global_load_dwordx2 v[48:49], v[2:3], off offset:512
	;; [unrolled: 1-line block ×3, first 2 shown]
	v_mov_b32_e32 v35, 0
	v_add_nc_u32_e32 v2, 0, v52
	v_mov_b32_e32 v3, v34
	v_cmp_eq_u32_e64 s0, 0x9f, v34
	v_mov_b32_e32 v4, v35
	v_add_nc_u32_e32 v5, 0x800, v2
	v_add_nc_u32_e32 v52, 0x1400, v2
	;; [unrolled: 1-line block ×9, first 2 shown]
	s_waitcnt vmcnt(18)
	ds_write2_b64 v2, v[18:19], v[20:21] offset1:160
	s_waitcnt vmcnt(16)
	ds_write2_b64 v5, v[22:23], v[6:7] offset0:64 offset1:224
	s_waitcnt vmcnt(14)
	ds_write2_b64 v52, v[8:9], v[24:25] offset1:160
	s_waitcnt vmcnt(12)
	ds_write2_b64 v53, v[10:11], v[12:13] offset0:64 offset1:224
	;; [unrolled: 4-line block ×5, first 2 shown]
	s_and_saveexec_b32 s4, s0
	s_cbranch_execz .LBB0_14
; %bb.13:
	v_add_co_u32 v0, s0, 0x6000, v0
	v_add_co_ci_u32_e64 v1, s0, 0, v1, s0
	v_mov_b32_e32 v3, 0x9f
	v_mov_b32_e32 v4, 0
	;; [unrolled: 1-line block ×3, first 2 shown]
	global_load_dwordx2 v[0:1], v[0:1], off offset:1024
	s_waitcnt vmcnt(0)
	ds_write_b64 v35, v[0:1] offset:25600
.LBB0_14:
	s_or_b32 exec_lo, exec_lo, s4
.LBB0_15:
	s_or_b32 exec_lo, exec_lo, s1
	v_lshlrev_b32_e32 v0, 3, v34
	s_waitcnt lgkmcnt(0)
	s_barrier
	buffer_gl0_inv
	v_lshlrev_b64 v[40:41], 3, v[3:4]
	v_add_nc_u32_e32 v48, 0, v0
	v_sub_nc_u32_e32 v6, 0, v0
	s_add_u32 s1, s12, 0x63b0
	s_addc_u32 s4, s13, 0
	s_mov_b32 s5, exec_lo
	ds_read_b32 v2, v48
	ds_read_b32 v5, v6 offset:25600
	s_waitcnt lgkmcnt(0)
	v_add_f32_e32 v0, v5, v2
	v_sub_f32_e32 v1, v2, v5
	v_cmpx_ne_u32_e32 0, v34
	s_xor_b32 s5, exec_lo, s5
	s_cbranch_execz .LBB0_17
; %bb.16:
	v_add_co_u32 v0, s0, s1, v40
	v_add_co_ci_u32_e64 v1, s0, s4, v41, s0
	v_add_f32_e32 v7, v5, v2
	v_sub_f32_e32 v2, v2, v5
	global_load_dwordx2 v[3:4], v[0:1], off
	ds_read_b32 v0, v6 offset:25604
	ds_read_b32 v1, v48 offset:4
	s_waitcnt lgkmcnt(0)
	v_add_f32_e32 v5, v0, v1
	v_sub_f32_e32 v0, v1, v0
	s_waitcnt vmcnt(0)
	v_fma_f32 v9, v2, v4, v7
	v_fma_f32 v7, -v2, v4, v7
	v_fma_f32 v8, v5, v4, -v0
	v_fma_f32 v1, v5, v4, v0
	v_fma_f32 v0, -v3, v5, v9
	v_fmac_f32_e32 v7, v3, v5
	v_fmac_f32_e32 v8, v2, v3
	;; [unrolled: 1-line block ×3, first 2 shown]
	ds_write_b64 v6, v[7:8] offset:25600
.LBB0_17:
	s_andn2_saveexec_b32 s0, s5
	s_cbranch_execz .LBB0_19
; %bb.18:
	v_mov_b32_e32 v4, 0
	ds_read_b64 v[2:3], v4 offset:12800
	s_waitcnt lgkmcnt(0)
	v_add_f32_e32 v2, v2, v2
	v_mul_f32_e32 v3, -2.0, v3
	ds_write_b64 v4, v[2:3] offset:12800
.LBB0_19:
	s_or_b32 exec_lo, exec_lo, s0
	v_mov_b32_e32 v35, 0
	v_or_b32_e32 v19, 0x500, v34
	v_add_nc_u32_e32 v58, 0xa0, v34
	v_add_nc_u32_e32 v49, 0x1400, v48
	;; [unrolled: 1-line block ×3, first 2 shown]
	v_lshlrev_b64 v[42:43], 3, v[34:35]
	v_mov_b32_e32 v20, v35
	v_add_nc_u32_e32 v54, 0x800, v48
	v_add_nc_u32_e32 v52, 0x3c00, v48
	v_add_nc_u32_e32 v53, 0x1c00, v48
	v_add_nc_u32_e32 v51, 0x5000, v48
	v_add_co_u32 v2, s0, s1, v42
	v_add_co_ci_u32_e64 v3, s0, s4, v43, s0
	v_lshlrev_b64 v[38:39], 3, v[19:20]
	v_add_co_u32 v7, s0, 0x800, v2
	global_load_dwordx2 v[4:5], v[2:3], off offset:1280
	v_add_co_ci_u32_e64 v8, s0, 0, v3, s0
	v_add_co_u32 v11, s0, 0x1000, v2
	s_clause 0x1
	global_load_dwordx2 v[9:10], v[7:8], off offset:512
	global_load_dwordx2 v[7:8], v[7:8], off offset:1792
	v_add_co_ci_u32_e64 v12, s0, 0, v3, s0
	v_add_co_u32 v13, s0, 0x1800, v2
	v_add_co_ci_u32_e64 v14, s0, 0, v3, s0
	s_clause 0x2
	global_load_dwordx2 v[11:12], v[11:12], off offset:1024
	global_load_dwordx2 v[15:16], v[13:14], off offset:256
	;; [unrolled: 1-line block ×3, first 2 shown]
	v_add_co_u32 v17, s0, 0x2000, v2
	v_add_co_ci_u32_e64 v18, s0, 0, v3, s0
	v_add_co_u32 v19, s0, s1, v38
	v_add_co_ci_u32_e64 v20, s0, s4, v39, s0
	global_load_dwordx2 v[17:18], v[17:18], off offset:768
	ds_write_b64 v48, v[0:1]
	ds_read_b64 v[0:1], v48 offset:1280
	ds_read_b64 v[21:22], v6 offset:24320
	global_load_dwordx2 v[19:20], v[19:20], off
	v_add_co_u32 v2, s0, 0x2800, v2
	v_add_co_ci_u32_e64 v3, s0, 0, v3, s0
	v_add_nc_u32_e32 v57, 0x3000, v48
	v_add_nc_u32_e32 v56, 0x4400, v48
	v_add_nc_u32_e32 v55, 0x5800, v48
	v_mad_u32_u24 v67, 0x48, v34, v48
	v_cmp_gt_u32_e64 s0, 0x64, v34
	v_add_nc_u32_e32 v68, 0x3200, v67
	v_add_nc_u32_e32 v69, 0x3210, v67
	v_add_nc_u32_e32 v70, 0x3220, v67
	v_add_nc_u32_e32 v71, 0x3230, v67
	v_add_nc_u32_e32 v72, 0x3240, v67
	s_waitcnt lgkmcnt(0)
	v_add_f32_e32 v23, v0, v21
	v_add_f32_e32 v24, v22, v1
	v_sub_f32_e32 v25, v0, v21
	v_sub_f32_e32 v0, v1, v22
	s_waitcnt vmcnt(7)
	v_fma_f32 v26, v25, v5, v23
	v_fma_f32 v1, v24, v5, v0
	v_fma_f32 v21, -v25, v5, v23
	v_fma_f32 v22, v24, v5, -v0
	v_fma_f32 v0, -v4, v24, v26
	v_fmac_f32_e32 v1, v25, v4
	v_fmac_f32_e32 v21, v4, v24
	;; [unrolled: 1-line block ×3, first 2 shown]
	ds_write_b64 v48, v[0:1] offset:1280
	ds_write_b64 v6, v[21:22] offset:24320
	ds_read_b64 v[4:5], v48 offset:2560
	ds_read_b64 v[21:22], v6 offset:23040
	global_load_dwordx2 v[0:1], v[2:3], off offset:1280
	s_waitcnt lgkmcnt(0)
	v_add_f32_e32 v2, v4, v21
	v_add_f32_e32 v23, v22, v5
	v_sub_f32_e32 v21, v4, v21
	v_sub_f32_e32 v5, v5, v22
	s_waitcnt vmcnt(7)
	v_fma_f32 v22, v21, v10, v2
	v_fma_f32 v3, v23, v10, v5
	v_fma_f32 v4, -v21, v10, v2
	v_fma_f32 v5, v23, v10, -v5
	v_fma_f32 v2, -v9, v23, v22
	v_fmac_f32_e32 v3, v21, v9
	v_fmac_f32_e32 v4, v9, v23
	v_fmac_f32_e32 v5, v21, v9
	ds_write_b64 v48, v[2:3] offset:2560
	ds_write_b64 v6, v[4:5] offset:23040
	ds_read_b64 v[2:3], v48 offset:3840
	ds_read_b64 v[4:5], v6 offset:21760
	s_waitcnt lgkmcnt(0)
	v_add_f32_e32 v9, v2, v4
	v_add_f32_e32 v10, v5, v3
	v_sub_f32_e32 v21, v2, v4
	v_sub_f32_e32 v2, v3, v5
	s_waitcnt vmcnt(6)
	v_fma_f32 v22, v21, v8, v9
	v_fma_f32 v3, v10, v8, v2
	v_fma_f32 v4, -v21, v8, v9
	v_fma_f32 v5, v10, v8, -v2
	v_fma_f32 v2, -v7, v10, v22
	v_fmac_f32_e32 v3, v21, v7
	v_fmac_f32_e32 v4, v7, v10
	v_fmac_f32_e32 v5, v21, v7
	ds_write_b64 v48, v[2:3] offset:3840
	ds_write_b64 v6, v[4:5] offset:21760
	ds_read_b64 v[2:3], v48 offset:5120
	ds_read_b64 v[4:5], v6 offset:20480
	;; [unrolled: 18-line block ×6, first 2 shown]
	s_waitcnt lgkmcnt(0)
	v_add_f32_e32 v7, v2, v4
	v_add_f32_e32 v8, v5, v3
	v_sub_f32_e32 v9, v2, v4
	v_sub_f32_e32 v2, v3, v5
	s_waitcnt vmcnt(1)
	v_fma_f32 v10, v9, v20, v7
	v_fma_f32 v3, v8, v20, v2
	v_fma_f32 v4, -v9, v20, v7
	v_fma_f32 v5, v8, v20, -v2
	v_and_b32_e32 v7, 0xff, v34
	v_fma_f32 v2, -v19, v8, v10
	v_fmac_f32_e32 v3, v9, v19
	v_fmac_f32_e32 v4, v19, v8
	v_fmac_f32_e32 v5, v9, v19
	ds_write_b64 v48, v[2:3] offset:10240
	ds_write_b64 v6, v[4:5] offset:15360
	ds_read_b64 v[2:3], v48 offset:11520
	ds_read_b64 v[4:5], v6 offset:14080
	v_mov_b32_e32 v8, 0xcccd
	v_mul_lo_u16 v7, 0xcd, v7
	v_mov_b32_e32 v20, 9
	v_mul_u32_u24_sdwa v8, v58, v8 dst_sel:DWORD dst_unused:UNUSED_PAD src0_sel:WORD_0 src1_sel:DWORD
	v_lshrrev_b16 v59, 11, v7
	v_lshrrev_b32_e32 v60, 19, v8
	s_waitcnt lgkmcnt(0)
	v_add_f32_e32 v7, v2, v4
	v_sub_f32_e32 v10, v2, v4
	v_add_f32_e32 v9, v5, v3
	v_sub_f32_e32 v4, v3, v5
	v_mul_lo_u16 v5, v59, 10
	v_sub_nc_u16 v62, v34, v5
	v_mul_u32_u24_sdwa v21, v62, v20 dst_sel:DWORD dst_unused:UNUSED_PAD src0_sel:BYTE_0 src1_sel:DWORD
	v_lshlrev_b32_e32 v73, 3, v21
	s_waitcnt vmcnt(0)
	v_fma_f32 v8, v10, v1, v7
	v_fma_f32 v3, -v10, v1, v7
	v_mul_lo_u16 v7, v60, 10
	v_fma_f32 v2, v9, v1, v4
	v_fma_f32 v4, v9, v1, -v4
	v_fma_f32 v1, -v0, v9, v8
	v_fmac_f32_e32 v3, v0, v9
	v_sub_nc_u16 v61, v58, v7
	v_fmac_f32_e32 v2, v10, v0
	v_fmac_f32_e32 v4, v10, v0
	ds_write_b64 v48, v[1:2] offset:11520
	ds_write_b64 v6, v[3:4] offset:14080
	v_mul_u32_u24_sdwa v20, v61, v20 dst_sel:DWORD dst_unused:UNUSED_PAD src0_sel:WORD_0 src1_sel:DWORD
	s_waitcnt lgkmcnt(0)
	s_barrier
	buffer_gl0_inv
	s_barrier
	buffer_gl0_inv
	ds_read2_b64 v[0:3], v48 offset1:160
	ds_read2_b64 v[4:7], v49 offset1:160
	ds_read2_b64 v[8:11], v50 offset1:160
	ds_read2_b64 v[12:15], v52 offset1:160
	ds_read2_b64 v[16:19], v51 offset1:160
	v_lshlrev_b32_e32 v74, 3, v20
	ds_read2_b64 v[20:23], v54 offset0:64 offset1:224
	ds_read2_b64 v[24:27], v53 offset0:64 offset1:224
	ds_read2_b64 v[28:31], v57 offset0:64 offset1:224
	ds_read2_b64 v[44:47], v56 offset0:64 offset1:224
	ds_read2_b64 v[63:66], v55 offset0:64 offset1:224
	s_waitcnt lgkmcnt(0)
	s_barrier
	buffer_gl0_inv
	v_add_f32_e32 v75, v0, v4
	v_add_f32_e32 v91, v2, v6
	v_sub_f32_e32 v87, v5, v9
	v_sub_f32_e32 v88, v17, v13
	;; [unrolled: 1-line block ×3, first 2 shown]
	v_add_f32_e32 v96, v3, v7
	v_sub_f32_e32 v99, v7, v11
	v_sub_f32_e32 v104, v14, v18
	;; [unrolled: 1-line block ×3, first 2 shown]
	v_add_f32_e32 v111, v28, v44
	v_add_f32_e32 v115, v29, v45
	;; [unrolled: 1-line block ×3, first 2 shown]
	v_sub_f32_e32 v117, v25, v29
	v_sub_f32_e32 v118, v29, v25
	;; [unrolled: 1-line block ×3, first 2 shown]
	v_add_f32_e32 v25, v25, v64
	v_add_f32_e32 v76, v8, v12
	v_sub_f32_e32 v79, v4, v8
	v_sub_f32_e32 v82, v8, v4
	v_add_f32_e32 v84, v1, v5
	v_sub_f32_e32 v86, v8, v12
	v_add_f32_e32 v92, v10, v14
	v_sub_f32_e32 v94, v6, v10
	v_sub_f32_e32 v98, v10, v14
	v_add_f32_e32 v107, v20, v24
	v_add_f32_e32 v110, v23, v27
	v_sub_f32_e32 v123, v27, v31
	v_sub_f32_e32 v124, v31, v27
	v_add_f32_e32 v8, v75, v8
	v_add_f32_e32 v10, v91, v10
	v_sub_f32_e32 v75, v27, v66
	v_add_f32_e32 v27, v27, v66
	v_add_f32_e32 v91, v31, v47
	;; [unrolled: 1-line block ×5, first 2 shown]
	v_sub_f32_e32 v88, v66, v47
	v_add_f32_e32 v81, v4, v16
	v_sub_f32_e32 v93, v11, v15
	v_add_f32_e32 v97, v11, v15
	v_sub_f32_e32 v100, v11, v7
	v_sub_f32_e32 v101, v7, v19
	v_add_f32_e32 v7, v7, v19
	v_sub_f32_e32 v113, v24, v28
	;; [unrolled: 3-line block ×3, first 2 shown]
	v_add_f32_e32 v11, v96, v11
	v_add_f32_e32 v95, v95, v104
	;; [unrolled: 1-line block ×3, first 2 shown]
	v_fma_f32 v104, -0.5, v115, v21
	v_fma_f32 v105, -0.5, v111, v20
	v_sub_f32_e32 v77, v5, v17
	v_sub_f32_e32 v83, v12, v16
	v_add_f32_e32 v89, v5, v17
	v_sub_f32_e32 v5, v9, v5
	v_sub_f32_e32 v90, v13, v17
	;; [unrolled: 1-line block ×3, first 2 shown]
	v_fma_f32 v21, -0.5, v25, v21
	v_sub_f32_e32 v78, v9, v13
	v_add_f32_e32 v85, v9, v13
	v_add_f32_e32 v9, v84, v9
	;; [unrolled: 1-line block ×3, first 2 shown]
	v_sub_f32_e32 v96, v30, v46
	v_sub_f32_e32 v127, v63, v44
	v_add_f32_e32 v28, v107, v28
	v_fma_f32 v91, -0.5, v91, v23
	v_fmac_f32_e32 v23, -0.5, v27
	v_add_f32_e32 v102, v6, v18
	v_sub_f32_e32 v121, v26, v30
	v_sub_f32_e32 v122, v30, v26
	;; [unrolled: 1-line block ×3, first 2 shown]
	v_add_f32_e32 v30, v109, v30
	v_sub_f32_e32 v107, v44, v63
	v_sub_f32_e32 v109, v45, v64
	v_add_f32_e32 v25, v123, v88
	v_fma_f32 v88, -0.5, v119, v22
	v_sub_f32_e32 v80, v16, v12
	v_sub_f32_e32 v106, v15, v19
	;; [unrolled: 1-line block ×3, first 2 shown]
	v_add_f32_e32 v29, v108, v29
	v_sub_f32_e32 v108, v64, v45
	v_fma_f32 v97, -0.5, v97, v3
	v_fmac_f32_e32 v3, -0.5, v7
	v_fma_f32 v76, -0.5, v76, v0
	v_fma_f32 v81, -0.5, v81, v0
	v_add_f32_e32 v0, v8, v12
	v_add_f32_e32 v7, v11, v15
	v_fmamk_f32 v12, v125, 0xbf737871, v105
	v_fmamk_f32 v15, v24, 0x3f737871, v104
	v_sub_f32_e32 v103, v18, v14
	v_add_f32_e32 v82, v82, v83
	v_add_f32_e32 v83, v5, v90
	v_fma_f32 v20, -0.5, v126, v20
	v_add_f32_e32 v5, v10, v14
	v_fmamk_f32 v14, v116, 0xbf737871, v21
	v_fmac_f32_e32 v21, 0x3f737871, v116
	v_fmac_f32_e32 v104, 0xbf737871, v24
	v_sub_f32_e32 v120, v31, v47
	v_add_f32_e32 v113, v113, v127
	v_sub_f32_e32 v127, v47, v66
	v_fma_f32 v22, -0.5, v84, v22
	v_add_f32_e32 v8, v28, v44
	v_fmamk_f32 v44, v96, 0xbf737871, v23
	v_fmac_f32_e32 v23, 0x3f737871, v96
	v_add_f32_e32 v31, v110, v31
	v_sub_f32_e32 v110, v65, v46
	v_add_f32_e32 v90, v114, v107
	v_add_f32_e32 v107, v118, v109
	v_fma_f32 v84, -0.5, v92, v2
	v_fma_f32 v2, -0.5, v102, v2
	v_fmamk_f32 v102, v75, 0xbf737871, v88
	v_fmamk_f32 v109, v26, 0x3f737871, v91
	v_sub_f32_e32 v4, v4, v16
	v_add_f32_e32 v108, v117, v108
	v_fma_f32 v85, -0.5, v85, v1
	v_add_f32_e32 v10, v30, v46
	v_fmac_f32_e32 v91, 0xbf737871, v26
	v_fmac_f32_e32 v15, 0x3f167918, v116
	;; [unrolled: 1-line block ×3, first 2 shown]
	v_fma_f32 v89, -0.5, v89, v1
	v_add_f32_e32 v1, v9, v13
	v_fmamk_f32 v13, v112, 0x3f737871, v20
	v_fmac_f32_e32 v20, 0xbf737871, v112
	v_fmac_f32_e32 v14, 0x3f167918, v24
	;; [unrolled: 1-line block ×5, first 2 shown]
	v_add_f32_e32 v79, v79, v80
	v_sub_f32_e32 v80, v46, v65
	v_add_f32_e32 v27, v124, v127
	v_add_f32_e32 v100, v100, v106
	v_fmamk_f32 v106, v120, 0x3f737871, v22
	v_fmac_f32_e32 v22, 0xbf737871, v120
	v_fmac_f32_e32 v23, 0xbf167918, v26
	v_sub_f32_e32 v6, v6, v18
	v_add_f32_e32 v94, v94, v103
	v_add_f32_e32 v103, v121, v110
	v_fmamk_f32 v28, v77, 0xbf737871, v76
	v_fmac_f32_e32 v76, 0x3f737871, v77
	v_fmac_f32_e32 v102, 0xbf167918, v120
	;; [unrolled: 1-line block ×4, first 2 shown]
	v_add_f32_e32 v9, v29, v45
	v_fmamk_f32 v29, v4, 0x3f737871, v85
	v_fmamk_f32 v30, v78, 0x3f737871, v81
	v_fmac_f32_e32 v81, 0xbf737871, v78
	v_fmamk_f32 v92, v98, 0xbf737871, v3
	v_fmac_f32_e32 v3, 0x3f737871, v98
	v_fmac_f32_e32 v88, 0x3f737871, v75
	v_add_f32_e32 v18, v5, v18
	v_add_f32_e32 v5, v8, v63
	;; [unrolled: 1-line block ×3, first 2 shown]
	v_fmac_f32_e32 v91, 0xbf167918, v96
	v_fmac_f32_e32 v15, 0x3e9e377a, v108
	;; [unrolled: 1-line block ×3, first 2 shown]
	v_add_f32_e32 v11, v31, v47
	v_fmamk_f32 v31, v86, 0xbf737871, v89
	v_fmac_f32_e32 v89, 0x3f737871, v86
	v_fmac_f32_e32 v13, 0xbf167918, v125
	;; [unrolled: 1-line block ×8, first 2 shown]
	v_add_f32_e32 v80, v122, v80
	v_fmac_f32_e32 v22, 0x3f167918, v75
	v_fmac_f32_e32 v23, 0x3e9e377a, v27
	v_fmamk_f32 v45, v101, 0xbf737871, v84
	v_fmamk_f32 v46, v93, 0x3f737871, v2
	v_fmac_f32_e32 v2, 0xbf737871, v93
	v_fmamk_f32 v47, v6, 0x3f737871, v97
	v_fmac_f32_e32 v28, 0xbf167918, v78
	v_fmac_f32_e32 v76, 0x3f167918, v78
	;; [unrolled: 1-line block ×14, first 2 shown]
	v_add_f32_e32 v6, v18, v8
	v_sub_f32_e32 v8, v18, v8
	v_fmac_f32_e32 v91, 0x3e9e377a, v25
	v_mul_f32_e32 v18, 0xbf167918, v15
	v_mul_f32_e32 v24, 0x3f167918, v12
	v_fmac_f32_e32 v31, 0x3f167918, v4
	v_fmac_f32_e32 v89, 0xbf167918, v4
	;; [unrolled: 1-line block ×4, first 2 shown]
	v_mul_f32_e32 v25, 0xbf737871, v14
	v_mul_f32_e32 v26, 0x3e9e377a, v14
	;; [unrolled: 1-line block ×4, first 2 shown]
	v_add_f32_e32 v19, v7, v19
	v_add_f32_e32 v7, v9, v64
	v_fmac_f32_e32 v85, 0xbf167918, v86
	v_fmac_f32_e32 v105, 0x3e9e377a, v113
	v_mul_f32_e32 v64, 0xbf167918, v104
	v_mul_f32_e32 v65, 0xbf4f1bbd, v104
	v_fmac_f32_e32 v22, 0x3e9e377a, v80
	v_mul_f32_e32 v21, 0xbe9e377a, v23
	v_add_f32_e32 v9, v11, v66
	v_fmac_f32_e32 v45, 0xbf167918, v93
	v_fmac_f32_e32 v46, 0xbf167918, v101
	;; [unrolled: 1-line block ×7, first 2 shown]
	v_mul_f32_e32 v66, 0xbf737871, v23
	v_mul_f32_e32 v75, 0xbf167918, v109
	;; [unrolled: 1-line block ×5, first 2 shown]
	v_add_f32_e32 v16, v0, v16
	v_add_f32_e32 v17, v1, v17
	v_fmac_f32_e32 v84, 0x3f167918, v93
	v_fmac_f32_e32 v97, 0xbf167918, v98
	;; [unrolled: 1-line block ×6, first 2 shown]
	v_mul_f32_e32 v80, 0xbf167918, v91
	v_mul_f32_e32 v82, 0xbf4f1bbd, v91
	v_fmac_f32_e32 v18, 0x3f4f1bbd, v12
	v_fmac_f32_e32 v24, 0x3f4f1bbd, v15
	;; [unrolled: 1-line block ×23, first 2 shown]
	v_add_f32_e32 v0, v16, v5
	v_add_f32_e32 v1, v17, v7
	v_fmac_f32_e32 v84, 0x3e9e377a, v94
	v_fmac_f32_e32 v97, 0x3e9e377a, v99
	;; [unrolled: 1-line block ×4, first 2 shown]
	v_add_f32_e32 v10, v28, v18
	v_add_f32_e32 v11, v29, v24
	;; [unrolled: 1-line block ×6, first 2 shown]
	v_sub_f32_e32 v4, v16, v5
	v_sub_f32_e32 v5, v17, v7
	v_add_f32_e32 v16, v76, v64
	v_add_f32_e32 v17, v85, v65
	;; [unrolled: 1-line block ×3, first 2 shown]
	v_sub_f32_e32 v9, v19, v9
	v_add_f32_e32 v19, v3, v21
	v_sub_f32_e32 v3, v3, v21
	v_sub_f32_e32 v20, v28, v18
	;; [unrolled: 1-line block ×9, first 2 shown]
	v_add_f32_e32 v18, v2, v66
	v_sub_f32_e32 v2, v2, v66
	v_add_f32_e32 v28, v45, v75
	v_add_f32_e32 v29, v47, v77
	v_sub_f32_e32 v30, v45, v75
	v_sub_f32_e32 v31, v47, v77
	v_add_f32_e32 v44, v46, v78
	v_add_f32_e32 v45, v92, v79
	v_sub_f32_e32 v46, v46, v78
	v_sub_f32_e32 v47, v92, v79
	v_add_f32_e32 v63, v84, v80
	v_add_f32_e32 v64, v97, v82
	v_sub_f32_e32 v65, v84, v80
	v_sub_f32_e32 v66, v97, v82
	ds_write2_b64 v67, v[0:1], v[10:11] offset1:1
	ds_write2_b64 v67, v[12:13], v[14:15] offset0:2 offset1:3
	ds_write2_b64 v67, v[16:17], v[4:5] offset0:4 offset1:5
	;; [unrolled: 1-line block ×4, first 2 shown]
	ds_write2_b64 v68, v[6:7], v[28:29] offset1:1
	ds_write2_b64 v69, v[44:45], v[18:19] offset1:1
	;; [unrolled: 1-line block ×5, first 2 shown]
	s_waitcnt lgkmcnt(0)
	s_barrier
	buffer_gl0_inv
	s_clause 0x9
	global_load_dwordx4 v[16:19], v73, s[12:13]
	global_load_dwordx4 v[12:15], v74, s[12:13]
	global_load_dwordx4 v[8:11], v73, s[12:13] offset:16
	global_load_dwordx4 v[4:7], v74, s[12:13] offset:16
	global_load_dwordx4 v[0:3], v73, s[12:13] offset:32
	global_load_dwordx4 v[20:23], v74, s[12:13] offset:32
	global_load_dwordx4 v[24:27], v73, s[12:13] offset:48
	global_load_dwordx4 v[28:31], v74, s[12:13] offset:48
	global_load_dwordx2 v[46:47], v73, s[12:13] offset:64
	global_load_dwordx2 v[44:45], v74, s[12:13] offset:64
	v_add_nc_u32_e32 v64, 0x140, v34
	v_add_nc_u16 v70, v34, 0x1e0
	v_mov_b32_e32 v65, 0x147b
	v_add_nc_u16 v71, v34, 0x280
	v_add_nc_u32_e32 v66, 0xffffff9c, v34
	v_lshrrev_b16 v68, 2, v58
	v_lshrrev_b16 v72, 2, v64
	;; [unrolled: 1-line block ×3, first 2 shown]
	v_mov_b32_e32 v67, 0x320
	v_lshrrev_b16 v75, 2, v71
	v_cndmask_b32_e64 v69, v66, v34, s0
	v_mul_u32_u24_sdwa v66, v68, v65 dst_sel:DWORD dst_unused:UNUSED_PAD src0_sel:WORD_0 src1_sel:DWORD
	v_mul_u32_u24_sdwa v68, v74, v65 dst_sel:DWORD dst_unused:UNUSED_PAD src0_sel:WORD_0 src1_sel:DWORD
	;; [unrolled: 1-line block ×3, first 2 shown]
	v_mov_b32_e32 v73, v35
	v_mul_u32_u24_sdwa v75, v75, v65 dst_sel:DWORD dst_unused:UNUSED_PAD src0_sel:WORD_0 src1_sel:DWORD
	v_mul_i32_i24_e32 v72, 3, v69
	v_lshrrev_b32_e32 v66, 17, v66
	v_lshrrev_b32_e32 v65, 17, v68
	v_mul_u32_u24_sdwa v76, v59, v67 dst_sel:DWORD dst_unused:UNUSED_PAD src0_sel:WORD_0 src1_sel:DWORD
	v_lshrrev_b32_e32 v67, 17, v74
	v_mov_b32_e32 v63, 3
	v_lshrrev_b32_e32 v59, 17, v75
	v_mul_u32_u24_e32 v78, 0x320, v60
	v_mul_lo_u16 v60, 0x64, v66
	v_lshlrev_b64 v[110:111], 3, v[72:73]
	v_mul_lo_u16 v72, 0x64, v65
	v_mul_lo_u16 v73, 0x64, v67
	;; [unrolled: 1-line block ×3, first 2 shown]
	v_sub_nc_u16 v68, v58, v60
	v_lshlrev_b32_sdwa v75, v63, v62 dst_sel:DWORD dst_unused:UNUSED_PAD src0_sel:DWORD src1_sel:BYTE_0
	v_sub_nc_u16 v58, v70, v72
	v_sub_nc_u16 v62, v64, v73
	;; [unrolled: 1-line block ×3, first 2 shown]
	v_lshlrev_b32_sdwa v61, v63, v61 dst_sel:DWORD dst_unused:UNUSED_PAD src0_sel:DWORD src1_sel:WORD_0
	v_add3_u32 v112, 0, v76, v75
	v_mul_u32_u24_sdwa v79, v68, v63 dst_sel:DWORD dst_unused:UNUSED_PAD src0_sel:WORD_0 src1_sel:DWORD
	v_mul_u32_u24_sdwa v80, v62, v63 dst_sel:DWORD dst_unused:UNUSED_PAD src0_sel:WORD_0 src1_sel:DWORD
	ds_read2_b64 v[70:73], v54 offset0:64 offset1:224
	v_mul_u32_u24_sdwa v81, v58, v63 dst_sel:DWORD dst_unused:UNUSED_PAD src0_sel:WORD_0 src1_sel:DWORD
	ds_read2_b64 v[74:77], v49 offset1:160
	v_add3_u32 v61, 0, v78, v61
	v_lshlrev_b32_e32 v113, 3, v79
	v_lshlrev_b32_e32 v114, 3, v80
	;; [unrolled: 1-line block ×3, first 2 shown]
	ds_read2_b64 v[78:81], v53 offset0:64 offset1:224
	v_mul_u32_u24_sdwa v82, v60, v63 dst_sel:DWORD dst_unused:UNUSED_PAD src0_sel:WORD_0 src1_sel:DWORD
	v_mul_u32_u24_e32 v59, 0xc80, v59
	v_lshlrev_b32_sdwa v62, v63, v62 dst_sel:DWORD dst_unused:UNUSED_PAD src0_sel:DWORD src1_sel:WORD_0
	v_lshlrev_b32_sdwa v58, v63, v58 dst_sel:DWORD dst_unused:UNUSED_PAD src0_sel:DWORD src1_sel:WORD_0
	;; [unrolled: 1-line block ×3, first 2 shown]
	v_lshlrev_b32_e32 v116, 3, v82
	ds_read2_b64 v[82:85], v50 offset1:160
	ds_read2_b64 v[86:89], v57 offset0:64 offset1:224
	ds_read2_b64 v[90:93], v52 offset1:160
	ds_read2_b64 v[94:97], v56 offset0:64 offset1:224
	;; [unrolled: 2-line block ×3, first 2 shown]
	ds_read2_b64 v[106:109], v48 offset1:160
	s_waitcnt vmcnt(0) lgkmcnt(0)
	s_barrier
	buffer_gl0_inv
	v_mul_f32_e32 v117, v17, v71
	v_mul_f32_e32 v17, v17, v70
	;; [unrolled: 1-line block ×11, first 2 shown]
	v_fmac_f32_e32 v117, v16, v70
	v_fma_f32 v16, v16, v71, -v17
	v_fmac_f32_e32 v118, v18, v74
	v_fma_f32 v17, v18, v75, -v19
	v_mul_f32_e32 v11, v82, v11
	v_mul_f32_e32 v18, v81, v5
	v_mul_f32_e32 v5, v80, v5
	v_mul_f32_e32 v19, v85, v7
	v_fmac_f32_e32 v119, v72, v12
	v_fma_f32 v12, v73, v12, -v13
	v_mul_f32_e32 v7, v84, v7
	v_mul_f32_e32 v13, v87, v1
	v_mul_f32_e32 v1, v86, v1
	v_mul_f32_e32 v70, v91, v3
	;; [unrolled: 6-line block ×3, first 2 shown]
	v_mul_f32_e32 v23, v92, v23
	v_mul_f32_e32 v72, v95, v25
	;; [unrolled: 1-line block ×4, first 2 shown]
	v_fmac_f32_e32 v121, v8, v78
	v_fma_f32 v8, v8, v79, -v9
	v_fmac_f32_e32 v122, v82, v10
	v_fma_f32 v9, v83, v10, -v11
	v_mul_f32_e32 v10, v98, v27
	v_mul_f32_e32 v11, v97, v29
	;; [unrolled: 1-line block ×4, first 2 shown]
	v_fmac_f32_e32 v18, v80, v4
	v_fma_f32 v4, v81, v4, -v5
	v_mul_f32_e32 v5, v100, v31
	v_mul_f32_e32 v31, v103, v47
	;; [unrolled: 1-line block ×4, first 2 shown]
	v_fmac_f32_e32 v19, v84, v6
	v_fma_f32 v6, v85, v6, -v7
	v_mul_f32_e32 v7, v104, v45
	v_fmac_f32_e32 v13, v86, v0
	v_fma_f32 v0, v87, v0, -v1
	v_fmac_f32_e32 v70, v90, v2
	v_fma_f32 v1, v91, v2, -v3
	v_fmac_f32_e32 v15, v88, v20
	v_fma_f32 v2, v89, v20, -v21
	v_fmac_f32_e32 v71, v92, v22
	v_fma_f32 v3, v93, v22, -v23
	v_fma_f32 v20, v95, v24, -v25
	v_fmac_f32_e32 v73, v98, v26
	v_fma_f32 v10, v99, v26, -v10
	v_fma_f32 v22, v103, v46, -v47
	v_fmac_f32_e32 v72, v94, v24
	v_fmac_f32_e32 v31, v102, v46
	;; [unrolled: 1-line block ×3, first 2 shown]
	v_fma_f32 v21, v97, v28, -v27
	v_fmac_f32_e32 v29, v100, v30
	v_fmac_f32_e32 v74, v104, v44
	v_fma_f32 v7, v105, v44, -v7
	v_sub_f32_e32 v23, v118, v122
	v_sub_f32_e32 v24, v73, v70
	;; [unrolled: 1-line block ×3, first 2 shown]
	v_add_f32_e32 v44, v16, v8
	v_add_f32_e32 v77, v108, v120
	v_sub_f32_e32 v85, v10, v1
	v_sub_f32_e32 v95, v8, v0
	v_sub_f32_e32 v100, v22, v20
	v_fma_f32 v5, v101, v30, -v5
	v_add_f32_e32 v28, v107, v17
	v_add_f32_e32 v30, v117, v121
	;; [unrolled: 1-line block ×5, first 2 shown]
	v_sub_f32_e32 v98, v0, v8
	v_sub_f32_e32 v99, v8, v22
	v_add_f32_e32 v8, v8, v22
	v_add_f32_e32 v26, v106, v118
	;; [unrolled: 1-line block ×4, first 2 shown]
	v_sub_f32_e32 v97, v0, v20
	v_sub_f32_e32 v102, v19, v71
	v_add_f32_e32 v103, v19, v71
	v_sub_f32_e32 v104, v120, v19
	v_sub_f32_e32 v105, v19, v120
	v_add_f32_e32 v0, v44, v0
	v_add_f32_e32 v44, v15, v11
	v_add_f32_e32 v19, v77, v19
	v_sub_f32_e32 v77, v15, v18
	v_add_f32_e32 v23, v23, v24
	v_add_f32_e32 v24, v18, v74
	v_add_f32_e32 v25, v25, v85
	;; [unrolled: 4-line block ×3, first 2 shown]
	v_add_f32_e32 v76, v12, v4
	v_sub_f32_e32 v80, v122, v118
	v_sub_f32_e32 v82, v70, v73
	;; [unrolled: 1-line block ×10, first 2 shown]
	v_add_f32_e32 v127, v6, v3
	v_add_f32_e32 v9, v28, v9
	;; [unrolled: 1-line block ×3, first 2 shown]
	v_fma_f32 v88, -0.5, v88, v117
	v_fmac_f32_e32 v117, -0.5, v92
	v_add_f32_e32 v92, v4, v7
	v_fma_f32 v96, -0.5, v96, v16
	v_fmac_f32_e32 v16, -0.5, v8
	v_sub_f32_e32 v93, v31, v72
	v_add_f32_e32 v124, v14, v5
	v_add_f32_e32 v27, v122, v70
	v_sub_f32_e32 v79, v122, v70
	v_add_f32_e32 v81, v118, v73
	v_sub_f32_e32 v125, v6, v14
	v_sub_f32_e32 v126, v14, v5
	;; [unrolled: 1-line block ×3, first 2 shown]
	v_add_f32_e32 v26, v26, v122
	v_sub_f32_e32 v122, v6, v3
	v_sub_f32_e32 v30, v5, v3
	v_add_f32_e32 v6, v47, v6
	v_sub_f32_e32 v47, v15, v11
	v_add_f32_e32 v75, v75, v15
	v_sub_f32_e32 v15, v18, v15
	v_sub_f32_e32 v18, v18, v74
	v_fma_f32 v44, -0.5, v44, v119
	v_fmac_f32_e32 v119, -0.5, v24
	v_add_f32_e32 v24, v77, v85
	v_fma_f32 v77, -0.5, v100, v12
	v_sub_f32_e32 v46, v17, v10
	v_sub_f32_e32 v78, v118, v73
	v_add_f32_e32 v17, v17, v10
	v_sub_f32_e32 v94, v72, v31
	v_sub_f32_e32 v118, v120, v29
	;; [unrolled: 1-line block ×3, first 2 shown]
	v_add_f32_e32 v80, v80, v82
	v_sub_f32_e32 v82, v2, v4
	v_add_f32_e32 v84, v84, v86
	v_sub_f32_e32 v86, v2, v21
	;; [unrolled: 2-line block ×3, first 2 shown]
	v_sub_f32_e32 v4, v4, v7
	v_sub_f32_e32 v8, v7, v21
	v_add_f32_e32 v98, v98, v101
	v_fma_f32 v101, -0.5, v127, v109
	v_fmac_f32_e32 v12, -0.5, v92
	v_add_f32_e32 v1, v9, v1
	v_add_f32_e32 v9, v13, v72
	v_fmamk_f32 v72, v91, 0x3f737871, v96
	v_sub_f32_e32 v123, v71, v29
	v_fma_f32 v45, -0.5, v45, v107
	v_add_f32_e32 v13, v19, v71
	v_fmamk_f32 v71, v89, 0xbf737871, v16
	v_fmac_f32_e32 v16, 0x3f737871, v89
	v_add_f32_e32 v87, v87, v93
	v_sub_f32_e32 v93, v74, v11
	v_fmac_f32_e32 v109, -0.5, v124
	v_fmac_f32_e32 v96, 0xbf737871, v91
	v_add_f32_e32 v14, v14, v30
	v_fma_f32 v30, -0.5, v81, v106
	v_fma_f32 v27, -0.5, v27, v106
	v_fmamk_f32 v106, v18, 0x3f737871, v77
	v_add_f32_e32 v120, v120, v29
	v_add_f32_e32 v90, v90, v94
	v_sub_f32_e32 v94, v21, v7
	v_add_f32_e32 v85, v104, v121
	v_add_f32_e32 v8, v2, v8
	v_fma_f32 v81, -0.5, v17, v107
	v_add_f32_e32 v2, v26, v70
	v_fmamk_f32 v70, v99, 0xbf737871, v88
	v_fmamk_f32 v100, v118, 0x3f737871, v101
	v_fmac_f32_e32 v101, 0xbf737871, v118
	v_fmamk_f32 v104, v4, 0xbf737871, v44
	v_fmac_f32_e32 v44, 0x3f737871, v4
	v_fmac_f32_e32 v77, 0xbf737871, v18
	v_fmamk_f32 v107, v47, 0xbf737871, v12
	v_fmac_f32_e32 v12, 0x3f737871, v47
	v_fmac_f32_e32 v72, 0x3f167918, v89
	v_sub_f32_e32 v28, v3, v5
	v_add_f32_e32 v92, v105, v123
	v_add_f32_e32 v0, v0, v20
	;; [unrolled: 1-line block ×5, first 2 shown]
	v_fmamk_f32 v21, v78, 0x3f737871, v45
	v_fmac_f32_e32 v45, 0xbf737871, v78
	v_fmamk_f32 v26, v97, 0x3f737871, v117
	v_fmac_f32_e32 v117, 0xbf737871, v97
	;; [unrolled: 2-line block ×3, first 2 shown]
	v_fmac_f32_e32 v71, 0x3f167918, v91
	v_fmac_f32_e32 v16, 0xbf167918, v91
	v_add_f32_e32 v15, v15, v93
	v_fma_f32 v93, -0.5, v103, v108
	v_fmac_f32_e32 v88, 0x3f737871, v99
	v_fmamk_f32 v103, v102, 0xbf737871, v109
	v_fmac_f32_e32 v109, 0x3f737871, v102
	v_fmac_f32_e32 v96, 0xbf167918, v89
	;; [unrolled: 1-line block ×3, first 2 shown]
	v_add_f32_e32 v82, v82, v94
	v_fma_f32 v94, -0.5, v120, v108
	v_fmamk_f32 v17, v46, 0xbf737871, v27
	v_fmac_f32_e32 v27, 0x3f737871, v46
	v_fmac_f32_e32 v70, 0xbf167918, v97
	;; [unrolled: 1-line block ×10, first 2 shown]
	v_fmamk_f32 v19, v83, 0x3f737871, v30
	v_fmac_f32_e32 v30, 0xbf737871, v83
	v_fmamk_f32 v20, v79, 0xbf737871, v81
	v_fmac_f32_e32 v81, 0x3f737871, v79
	v_add_f32_e32 v10, v1, v10
	v_add_f32_e32 v22, v0, v22
	v_fmac_f32_e32 v26, 0xbf167918, v99
	v_fmac_f32_e32 v117, 0x3f167918, v99
	;; [unrolled: 1-line block ×8, first 2 shown]
	v_add_f32_e32 v28, v125, v28
	v_add_f32_e32 v13, v13, v29
	;; [unrolled: 1-line block ×4, first 2 shown]
	v_fmac_f32_e32 v88, 0x3f167918, v97
	v_fmac_f32_e32 v109, 0xbf167918, v118
	;; [unrolled: 1-line block ×4, first 2 shown]
	v_fmamk_f32 v75, v126, 0xbf737871, v93
	v_fmac_f32_e32 v106, 0x3e9e377a, v8
	v_fmac_f32_e32 v93, 0x3f737871, v126
	v_fmamk_f32 v76, v122, 0x3f737871, v94
	v_fmac_f32_e32 v94, 0xbf737871, v122
	v_fmac_f32_e32 v17, 0xbf167918, v83
	;; [unrolled: 1-line block ×11, first 2 shown]
	v_mul_f32_e32 v14, 0xbf167918, v72
	v_mul_f32_e32 v15, 0x3f4f1bbd, v72
	v_fmac_f32_e32 v19, 0xbf167918, v46
	v_fmac_f32_e32 v30, 0x3f167918, v46
	;; [unrolled: 1-line block ×4, first 2 shown]
	v_add_f32_e32 v1, v10, v22
	v_sub_f32_e32 v3, v10, v22
	v_fmac_f32_e32 v26, 0x3e9e377a, v90
	v_fmac_f32_e32 v117, 0x3e9e377a, v90
	;; [unrolled: 1-line block ×6, first 2 shown]
	v_mul_f32_e32 v18, 0xbf737871, v71
	v_mul_f32_e32 v22, 0x3e9e377a, v71
	;; [unrolled: 1-line block ×4, first 2 shown]
	v_add_f32_e32 v5, v29, v7
	v_sub_f32_e32 v7, v29, v7
	v_fmac_f32_e32 v88, 0x3e9e377a, v87
	v_fmac_f32_e32 v109, 0x3e9e377a, v28
	;; [unrolled: 1-line block ×3, first 2 shown]
	v_mul_f32_e32 v28, 0xbf167918, v96
	v_mul_f32_e32 v29, 0xbf4f1bbd, v96
	v_fmac_f32_e32 v75, 0xbf167918, v122
	v_mul_f32_e32 v46, 0xbf167918, v106
	v_mul_f32_e32 v47, 0x3f4f1bbd, v106
	v_add_f32_e32 v2, v2, v73
	v_add_f32_e32 v9, v9, v31
	;; [unrolled: 1-line block ×3, first 2 shown]
	v_fmac_f32_e32 v93, 0x3f167918, v122
	v_fmac_f32_e32 v76, 0xbf167918, v126
	v_fmac_f32_e32 v94, 0x3f167918, v126
	v_fmac_f32_e32 v17, 0x3e9e377a, v23
	v_fmac_f32_e32 v27, 0x3e9e377a, v23
	v_mul_f32_e32 v23, 0xbe9e377a, v12
	v_mul_f32_e32 v31, 0xbf737871, v12
	;; [unrolled: 1-line block ×6, first 2 shown]
	v_fmac_f32_e32 v14, 0x3f4f1bbd, v70
	v_fmac_f32_e32 v15, 0x3f167918, v70
	;; [unrolled: 1-line block ×15, first 2 shown]
	v_add_f32_e32 v0, v2, v9
	v_sub_f32_e32 v2, v2, v9
	v_fmac_f32_e32 v93, 0x3e9e377a, v85
	v_fmac_f32_e32 v76, 0x3e9e377a, v92
	v_fmac_f32_e32 v94, 0x3e9e377a, v92
	v_fmac_f32_e32 v23, 0x3f737871, v119
	v_fmac_f32_e32 v31, 0xbe9e377a, v119
	v_fmac_f32_e32 v71, 0x3e9e377a, v105
	v_fmac_f32_e32 v72, 0x3f737871, v105
	v_fmac_f32_e32 v73, 0xbf4f1bbd, v44
	v_fmac_f32_e32 v74, 0x3f167918, v44
	v_add_f32_e32 v8, v17, v14
	v_add_f32_e32 v9, v21, v15
	;; [unrolled: 1-line block ×3, first 2 shown]
	v_sub_f32_e32 v6, v13, v6
	v_add_f32_e32 v10, v19, v18
	v_add_f32_e32 v11, v20, v22
	;; [unrolled: 1-line block ×4, first 2 shown]
	v_sub_f32_e32 v14, v17, v14
	v_add_f32_e32 v16, v27, v28
	v_add_f32_e32 v17, v45, v29
	v_sub_f32_e32 v15, v21, v15
	v_sub_f32_e32 v18, v19, v18
	;; [unrolled: 1-line block ×7, first 2 shown]
	v_add_f32_e32 v28, v75, v46
	v_add_f32_e32 v29, v100, v47
	;; [unrolled: 1-line block ×3, first 2 shown]
	v_sub_f32_e32 v23, v109, v23
	v_add_f32_e32 v20, v94, v31
	v_sub_f32_e32 v22, v94, v31
	v_sub_f32_e32 v30, v75, v46
	;; [unrolled: 1-line block ×3, first 2 shown]
	v_add_f32_e32 v44, v76, v71
	v_add_f32_e32 v45, v103, v72
	v_sub_f32_e32 v46, v76, v71
	v_sub_f32_e32 v47, v103, v72
	v_add_f32_e32 v70, v93, v73
	v_add_f32_e32 v71, v101, v74
	v_sub_f32_e32 v72, v93, v73
	v_sub_f32_e32 v73, v101, v74
	ds_write2_b64 v112, v[0:1], v[8:9] offset1:10
	ds_write2_b64 v112, v[10:11], v[12:13] offset0:20 offset1:30
	ds_write2_b64 v112, v[16:17], v[2:3] offset0:40 offset1:50
	;; [unrolled: 1-line block ×4, first 2 shown]
	ds_write2_b64 v61, v[4:5], v[28:29] offset1:10
	ds_write2_b64 v61, v[44:45], v[20:21] offset0:20 offset1:30
	ds_write2_b64 v61, v[70:71], v[6:7] offset0:40 offset1:50
	;; [unrolled: 1-line block ×4, first 2 shown]
	s_waitcnt lgkmcnt(0)
	s_barrier
	buffer_gl0_inv
	s_clause 0x2
	global_load_dwordx2 v[28:29], v113, s[12:13] offset:736
	global_load_dwordx2 v[26:27], v114, s[12:13] offset:736
	;; [unrolled: 1-line block ×3, first 2 shown]
	v_add_co_u32 v4, s0, s12, v110
	v_add_co_ci_u32_e64 v5, s0, s13, v111, s0
	s_clause 0x6
	global_load_dwordx2 v[22:23], v116, s[12:13] offset:736
	global_load_dwordx2 v[20:21], v[4:5], off offset:736
	global_load_dwordx4 v[16:19], v116, s[12:13] offset:720
	global_load_dwordx4 v[12:15], v115, s[12:13] offset:720
	;; [unrolled: 1-line block ×4, first 2 shown]
	global_load_dwordx4 v[4:7], v[4:5], off offset:720
	v_mul_u32_u24_e32 v30, 3, v34
	v_add_nc_u32_e32 v31, 0xffffffb0, v34
	v_cmp_gt_u32_e64 s0, 0x50, v34
	v_mov_b32_e32 v45, v35
	v_lshlrev_b32_e32 v47, 3, v69
	v_lshlrev_b32_e32 v46, 3, v30
	v_add3_u32 v116, 0, v59, v60
	v_cndmask_b32_e64 v30, v31, v64, s0
	v_cmp_lt_u32_e64 s0, 0x63, v34
	v_add_nc_u32_e32 v64, 0x1680, v46
	v_add_nc_u32_e32 v61, 0x780, v46
	v_mul_i32_i24_e32 v44, 3, v30
	v_cndmask_b32_e64 v31, 0, 0xc80, s0
	v_add_co_u32 v104, s0, s12, v46
	v_add_co_ci_u32_e64 v105, null, s13, 0, s0
	v_lshlrev_b64 v[44:45], 3, v[44:45]
	v_add_co_u32 v94, s0, 0xc30, v104
	v_add_co_ci_u32_e64 v95, s0, 0, v105, s0
	v_add_co_u32 v106, s0, s12, v64
	v_add_co_ci_u32_e64 v107, null, s13, 0, s0
	v_add_co_u32 v108, s0, s12, v61
	v_add_co_ci_u32_e64 v109, null, s13, 0, s0
	v_add_co_u32 v96, s0, 0x1b30, v104
	v_add_co_ci_u32_e64 v97, s0, 0, v105, s0
	v_add_co_u32 v98, s0, 0x800, v106
	v_add_co_ci_u32_e64 v99, s0, 0, v107, s0
	;; [unrolled: 2-line block ×3, first 2 shown]
	v_mul_u32_u24_e32 v46, 0xc80, v66
	v_add_co_u32 v111, s0, s12, v44
	v_lshlrev_b32_sdwa v44, v63, v68 dst_sel:DWORD dst_unused:UNUSED_PAD src0_sel:DWORD src1_sel:WORD_0
	v_add3_u32 v31, 0, v31, v47
	v_mul_u32_u24_e32 v61, 0xc80, v67
	v_mul_u32_u24_e32 v64, 0xc80, v65
	v_add_co_ci_u32_e64 v112, s0, s13, v45, s0
	v_add3_u32 v113, 0, v46, v44
	ds_read2_b64 v[44:47], v51 offset1:160
	v_add3_u32 v114, 0, v61, v62
	v_add3_u32 v115, 0, v64, v58
	ds_read2_b64 v[58:61], v55 offset0:64 offset1:224
	ds_read2_b64 v[62:65], v56 offset0:64 offset1:224
	ds_read2_b64 v[66:69], v50 offset1:160
	ds_read2_b64 v[70:73], v52 offset1:160
	ds_read2_b64 v[74:77], v53 offset0:64 offset1:224
	ds_read2_b64 v[78:81], v57 offset0:64 offset1:224
	ds_read2_b64 v[82:85], v49 offset1:160
	ds_read2_b64 v[86:89], v48 offset1:160
	ds_read2_b64 v[90:93], v54 offset0:64 offset1:224
	v_add_nc_u32_e32 v110, 0x400, v31
	s_waitcnt vmcnt(0) lgkmcnt(0)
	s_barrier
	buffer_gl0_inv
	v_add_co_u32 v102, s0, 0x800, v111
	v_add_nc_u32_e32 v117, 0x400, v113
	v_add_co_ci_u32_e64 v103, s0, 0, v112, s0
	v_add_nc_u32_e32 v118, 0x400, v114
	v_add_nc_u32_e32 v119, 0x400, v115
	;; [unrolled: 1-line block ×3, first 2 shown]
	v_lshlrev_b32_e32 v30, 3, v30
	v_mul_f32_e32 v121, v45, v29
	v_mul_f32_e32 v122, v47, v27
	;; [unrolled: 1-line block ×5, first 2 shown]
	v_fmac_f32_e32 v121, v44, v28
	v_fmac_f32_e32 v122, v46, v26
	v_fma_f32 v26, v47, v26, -v27
	v_mul_f32_e32 v27, v63, v19
	v_mul_f32_e32 v19, v62, v19
	v_fma_f32 v28, v45, v28, -v29
	v_mul_f32_e32 v29, v21, v65
	v_mul_f32_e32 v21, v21, v64
	;; [unrolled: 1-line block ×5, first 2 shown]
	v_fmac_f32_e32 v123, v58, v24
	v_mul_f32_e32 v46, v77, v9
	v_mul_f32_e32 v9, v76, v9
	;; [unrolled: 1-line block ×4, first 2 shown]
	v_fmac_f32_e32 v27, v62, v18
	v_fma_f32 v18, v63, v18, -v19
	v_mul_f32_e32 v19, v7, v79
	v_mul_f32_e32 v7, v7, v78
	;; [unrolled: 1-line block ×4, first 2 shown]
	v_fmac_f32_e32 v29, v20, v64
	v_fma_f32 v20, v20, v65, -v21
	v_mul_f32_e32 v21, v81, v3
	v_mul_f32_e32 v3, v80, v3
	v_fmac_f32_e32 v124, v60, v22
	v_fma_f32 v22, v61, v22, -v23
	v_mul_f32_e32 v23, v71, v11
	v_mul_f32_e32 v11, v70, v11
	;; [unrolled: 1-line block ×5, first 2 shown]
	v_fma_f32 v24, v59, v24, -v25
	v_mul_f32_e32 v13, v66, v13
	v_mul_f32_e32 v25, v73, v15
	;; [unrolled: 1-line block ×3, first 2 shown]
	v_fmac_f32_e32 v46, v76, v8
	v_fma_f32 v8, v77, v8, -v9
	v_fmac_f32_e32 v47, v0, v74
	v_fma_f32 v9, v0, v75, -v1
	;; [unrolled: 2-line block ×9, first 2 shown]
	v_sub_f32_e32 v3, v58, v29
	v_sub_f32_e32 v4, v0, v20
	;; [unrolled: 1-line block ×20, first 2 shown]
	v_fma_f32 v22, v58, 2.0, -v3
	v_fma_f32 v23, v0, 2.0, -v4
	;; [unrolled: 1-line block ×4, first 2 shown]
	v_add_f32_e32 v0, v14, v4
	v_sub_f32_e32 v1, v15, v3
	v_fma_f32 v61, v88, 2.0, -v17
	v_fma_f32 v62, v89, 2.0, -v19
	;; [unrolled: 1-line block ×4, first 2 shown]
	v_add_f32_e32 v2, v17, v2
	v_sub_f32_e32 v3, v19, v5
	v_fma_f32 v47, v90, 2.0, -v20
	v_fma_f32 v63, v91, 2.0, -v21
	;; [unrolled: 1-line block ×6, first 2 shown]
	v_add_f32_e32 v4, v20, v7
	v_sub_f32_e32 v5, v21, v6
	v_fma_f32 v45, v45, 2.0, -v10
	v_fma_f32 v66, v12, 2.0, -v11
	v_add_f32_e32 v6, v25, v11
	v_sub_f32_e32 v7, v28, v10
	v_fma_f32 v67, v82, 2.0, -v29
	v_fma_f32 v68, v83, 2.0, -v59
	;; [unrolled: 1-line block ×4, first 2 shown]
	v_sub_f32_e32 v10, v58, v22
	v_sub_f32_e32 v11, v60, v23
	;; [unrolled: 1-line block ×3, first 2 shown]
	v_fma_f32 v12, v14, 2.0, -v0
	v_fma_f32 v13, v15, 2.0, -v1
	v_sub_f32_e32 v14, v61, v24
	v_sub_f32_e32 v15, v62, v26
	v_add_f32_e32 v8, v29, v18
	v_fma_f32 v16, v17, 2.0, -v2
	v_fma_f32 v17, v19, 2.0, -v3
	v_sub_f32_e32 v18, v47, v27
	v_sub_f32_e32 v19, v63, v46
	;; [unrolled: 1-line block ×6, first 2 shown]
	ds_write2_b64 v110, v[10:11], v[0:1] offset0:72 offset1:172
	v_fma_f32 v0, v58, 2.0, -v10
	v_fma_f32 v1, v60, 2.0, -v11
	;; [unrolled: 1-line block ×16, first 2 shown]
	ds_write2_b64 v31, v[0:1], v[12:13] offset1:100
	ds_write2_b64 v113, v[10:11], v[16:17] offset1:100
	ds_write2_b64 v117, v[14:15], v[2:3] offset0:72 offset1:172
	ds_write2_b64 v114, v[44:45], v[20:21] offset1:100
	ds_write2_b64 v118, v[18:19], v[4:5] offset0:72 offset1:172
	ds_write2_b64 v115, v[46:47], v[24:25] offset1:100
	ds_write2_b64 v119, v[22:23], v[6:7] offset0:72 offset1:172
	ds_write2_b64 v116, v[58:59], v[28:29] offset1:100
	ds_write2_b64 v120, v[26:27], v[8:9] offset0:72 offset1:172
	v_add_co_u32 v4, s0, 0xc30, v111
	v_add_co_ci_u32_e64 v5, s0, 0, v112, s0
	v_add_co_u32 v6, s0, 0x1800, v104
	v_add_co_ci_u32_e64 v7, s0, 0, v105, s0
	;; [unrolled: 2-line block ×3, first 2 shown]
	s_waitcnt lgkmcnt(0)
	s_barrier
	buffer_gl0_inv
	s_clause 0x1
	global_load_dwordx4 v[16:19], v[98:99], off offset:1072
	global_load_dwordx2 v[28:29], v[94:95], off offset:16
	v_add_co_u32 v20, s0, 0xc30, v108
	v_add_co_ci_u32_e64 v21, s0, 0, v109, s0
	v_add_co_u32 v44, s0, 0xc30, v106
	s_clause 0x5
	global_load_dwordx4 v[12:15], v[100:101], off offset:1072
	global_load_dwordx4 v[0:3], v[102:103], off offset:1072
	global_load_dwordx2 v[26:27], v[96:97], off offset:16
	global_load_dwordx2 v[24:25], v[4:5], off offset:16
	global_load_dwordx4 v[4:7], v[6:7], off offset:816
	global_load_dwordx4 v[8:11], v[8:9], off offset:1072
	v_add_co_ci_u32_e64 v45, s0, 0, v107, s0
	s_clause 0x1
	global_load_dwordx2 v[22:23], v[20:21], off offset:16
	global_load_dwordx2 v[20:21], v[44:45], off offset:16
	v_add_co_u32 v40, s0, s12, v40
	v_add_co_ci_u32_e64 v41, s0, s13, v41, s0
	v_cmp_lt_u32_e64 s0, 0x4f, v34
	v_add_nc_u32_e32 v45, 0x2400, v48
	v_add_nc_u32_e32 v31, 0xc00, v48
	;; [unrolled: 1-line block ×4, first 2 shown]
	v_cndmask_b32_e64 v58, 0, 0x3200, s0
	v_add_co_u32 v94, s0, 0x3000, v40
	v_add_co_ci_u32_e64 v95, s0, 0, v41, s0
	v_add_co_u32 v107, s0, s12, v42
	v_add_co_ci_u32_e64 v108, s0, s13, v43, s0
	v_add3_u32 v109, 0, v58, v30
	ds_read2_b64 v[40:43], v50 offset1:160
	ds_read2_b64 v[58:61], v56 offset0:64 offset1:224
	ds_read2_b64 v[62:65], v52 offset1:160
	ds_read2_b64 v[66:69], v51 offset1:160
	ds_read2_b64 v[70:73], v53 offset0:64 offset1:224
	ds_read2_b64 v[74:77], v57 offset0:64 offset1:224
	ds_read2_b64 v[78:81], v49 offset1:160
	ds_read2_b64 v[82:85], v55 offset0:64 offset1:224
	ds_read2_b64 v[86:89], v48 offset1:160
	ds_read2_b64 v[90:93], v54 offset0:64 offset1:224
	v_add_co_u32 v96, s0, 0x3000, v107
	v_add_co_ci_u32_e64 v97, s0, 0, v108, s0
	v_add_co_u32 v98, s0, 0x3800, v107
	v_add_co_ci_u32_e64 v99, s0, 0, v108, s0
	;; [unrolled: 2-line block ×4, first 2 shown]
	s_waitcnt vmcnt(0) lgkmcnt(0)
	s_barrier
	buffer_gl0_inv
	v_add_co_u32 v104, s0, 0x5000, v107
	v_add_co_ci_u32_e64 v105, s0, 0, v108, s0
	v_add_co_u32 v38, s0, s12, v38
	v_add_co_ci_u32_e64 v39, s0, s13, v39, s0
	v_add_nc_u32_e32 v47, 0x4000, v48
	v_add_nc_u32_e32 v106, 0x4c00, v48
	v_mul_f32_e32 v110, v59, v19
	v_mul_f32_e32 v19, v58, v19
	;; [unrolled: 1-line block ×6, first 2 shown]
	v_fmac_f32_e32 v110, v58, v18
	v_mul_f32_e32 v112, v41, v13
	v_mul_f32_e32 v13, v40, v13
	;; [unrolled: 1-line block ×9, first 2 shown]
	v_fmac_f32_e32 v111, v28, v60
	v_fma_f32 v28, v28, v61, -v29
	v_mul_f32_e32 v5, v5, v70
	v_mul_f32_e32 v29, v77, v7
	v_fma_f32 v18, v59, v18, -v19
	v_mul_f32_e32 v7, v76, v7
	v_mul_f32_e32 v19, v11, v75
	;; [unrolled: 1-line block ×9, first 2 shown]
	v_fmac_f32_e32 v30, v42, v16
	v_fma_f32 v16, v43, v16, -v17
	v_mul_f32_e32 v17, v83, v23
	v_mul_f32_e32 v23, v82, v23
	v_mul_f32_e32 v42, v85, v21
	v_fmac_f32_e32 v112, v40, v12
	v_fma_f32 v12, v41, v12, -v13
	v_mul_f32_e32 v13, v84, v21
	v_fmac_f32_e32 v114, v62, v2
	v_fma_f32 v2, v63, v2, -v3
	v_fmac_f32_e32 v115, v66, v26
	v_fma_f32 v3, v67, v26, -v27
	;; [unrolled: 2-line block ×11, first 2 shown]
	v_sub_f32_e32 v10, v86, v19
	v_sub_f32_e32 v11, v87, v1
	;; [unrolled: 1-line block ×20, first 2 shown]
	v_add_f32_e32 v0, v10, v9
	v_sub_f32_e32 v1, v11, v8
	v_fma_f32 v40, v86, 2.0, -v10
	v_fma_f32 v41, v87, 2.0, -v11
	;; [unrolled: 1-line block ×4, first 2 shown]
	v_add_f32_e32 v2, v13, v20
	v_sub_f32_e32 v3, v19, v22
	v_fma_f32 v58, v58, 2.0, -v8
	v_fma_f32 v65, v5, 2.0, -v9
	;; [unrolled: 1-line block ×12, first 2 shown]
	v_add_f32_e32 v4, v23, v15
	v_fma_f32 v67, v112, 2.0, -v17
	v_fma_f32 v68, v12, 2.0, -v6
	;; [unrolled: 1-line block ×4, first 2 shown]
	ds_write2_b64 v45, v[0:1], v[2:3] offset0:48 offset1:208
	v_fma_f32 v0, v10, 2.0, -v0
	v_fma_f32 v1, v11, 2.0, -v1
	;; [unrolled: 1-line block ×4, first 2 shown]
	v_sub_f32_e32 v10, v40, v58
	v_sub_f32_e32 v11, v41, v65
	;; [unrolled: 1-line block ×6, first 2 shown]
	v_add_f32_e32 v8, v27, v29
	v_sub_f32_e32 v14, v59, v66
	v_sub_f32_e32 v15, v60, v21
	v_add_f32_e32 v6, v25, v6
	v_sub_f32_e32 v9, v28, v18
	v_fma_f32 v16, v23, 2.0, -v4
	v_sub_f32_e32 v18, v61, v67
	v_sub_f32_e32 v19, v62, v68
	v_sub_f32_e32 v22, v63, v30
	v_sub_f32_e32 v23, v64, v69
	ds_write2_b64 v31, v[0:1], v[2:3] offset0:16 offset1:176
	v_fma_f32 v0, v40, 2.0, -v10
	v_fma_f32 v1, v41, 2.0, -v11
	;; [unrolled: 1-line block ×15, first 2 shown]
	ds_write2_b64 v44, v[10:11], v[12:13] offset0:32 offset1:192
	ds_write2_b64 v48, v[0:1], v[2:3] offset1:160
	ds_write_b64 v109, v[26:27]
	ds_write_b64 v109, v[16:17] offset:3200
	ds_write_b64 v109, v[14:15] offset:6400
	;; [unrolled: 1-line block ×3, first 2 shown]
	ds_write2_b64 v46, v[28:29], v[30:31] offset0:16 offset1:176
	ds_write2_b64 v47, v[20:21], v[24:25] offset0:32 offset1:192
	;; [unrolled: 1-line block ×4, first 2 shown]
	v_add_co_u32 v0, s0, 0x3000, v38
	v_add_co_ci_u32_e64 v1, s0, 0, v39, s0
	v_add_co_u32 v2, s0, 0x5800, v107
	v_add_co_ci_u32_e64 v3, s0, 0, v108, s0
	s_waitcnt lgkmcnt(0)
	s_barrier
	buffer_gl0_inv
	s_clause 0x9
	global_load_dwordx2 v[46:47], v[94:95], off offset:432
	global_load_dwordx2 v[58:59], v[96:97], off offset:1712
	;; [unrolled: 1-line block ×10, first 2 shown]
	ds_read2_b64 v[0:3], v57 offset0:64 offset1:224
	ds_read2_b64 v[4:7], v52 offset1:160
	ds_read2_b64 v[8:11], v56 offset0:64 offset1:224
	ds_read2_b64 v[12:15], v48 offset1:160
	;; [unrolled: 2-line block ×5, first 2 shown]
	s_waitcnt vmcnt(0) lgkmcnt(0)
	s_barrier
	buffer_gl0_inv
	v_mul_f32_e32 v76, v47, v1
	v_mul_f32_e32 v47, v47, v0
	;; [unrolled: 1-line block ×20, first 2 shown]
	v_fmac_f32_e32 v76, v46, v0
	v_fma_f32 v1, v46, v1, -v47
	v_fmac_f32_e32 v77, v58, v2
	v_fma_f32 v3, v58, v3, -v59
	;; [unrolled: 2-line block ×10, first 2 shown]
	v_sub_f32_e32 v0, v12, v76
	v_sub_f32_e32 v1, v13, v1
	;; [unrolled: 1-line block ×20, first 2 shown]
	v_fma_f32 v12, v12, 2.0, -v0
	v_fma_f32 v13, v13, 2.0, -v1
	;; [unrolled: 1-line block ×20, first 2 shown]
	ds_write2_b64 v57, v[0:1], v[2:3] offset0:64 offset1:224
	ds_write2_b64 v52, v[4:5], v[6:7] offset1:160
	ds_write2_b64 v56, v[8:9], v[10:11] offset0:64 offset1:224
	ds_write2_b64 v51, v[20:21], v[22:23] offset1:160
	;; [unrolled: 2-line block ×5, first 2 shown]
	s_waitcnt lgkmcnt(0)
	s_barrier
	buffer_gl0_inv
	s_and_saveexec_b32 s0, vcc_lo
	s_cbranch_execz .LBB0_21
; %bb.20:
	v_mul_lo_u32 v2, s3, v36
	v_mul_lo_u32 v3, s2, v37
	v_mad_u64_u32 v[0:1], null, s2, v36, 0
	v_lshl_add_u32 v20, v34, 3, 0
	v_add_nc_u32_e32 v4, 0xa0, v34
	v_mov_b32_e32 v5, v35
	v_lshlrev_b64 v[8:9], 3, v[32:33]
	v_lshlrev_b64 v[10:11], 3, v[34:35]
	v_add_nc_u32_e32 v12, 0x140, v34
	v_add3_u32 v1, v1, v3, v2
	v_lshlrev_b64 v[14:15], 3, v[4:5]
	v_add_nc_u32_e32 v4, 0x800, v20
	v_mov_b32_e32 v13, v35
	v_add_nc_u32_e32 v18, 0x460, v34
	v_lshlrev_b64 v[6:7], 3, v[0:1]
	ds_read2_b64 v[0:3], v20 offset1:160
	v_mov_b32_e32 v19, v35
	v_add_co_u32 v16, vcc_lo, s10, v6
	v_add_co_ci_u32_e32 v17, vcc_lo, s11, v7, vcc_lo
	ds_read2_b64 v[4:7], v4 offset0:64 offset1:224
	v_add_co_u32 v21, vcc_lo, v16, v8
	v_add_co_ci_u32_e32 v22, vcc_lo, v17, v9, vcc_lo
	v_lshlrev_b64 v[8:9], 3, v[12:13]
	v_add_co_u32 v10, vcc_lo, v21, v10
	v_add_co_ci_u32_e32 v11, vcc_lo, v22, v11, vcc_lo
	v_add_co_u32 v12, vcc_lo, v21, v14
	v_add_co_ci_u32_e32 v13, vcc_lo, v22, v15, vcc_lo
	v_add_co_u32 v8, vcc_lo, v21, v8
	v_add_nc_u32_e32 v14, 0x1e0, v34
	v_mov_b32_e32 v15, v35
	v_add_co_ci_u32_e32 v9, vcc_lo, v22, v9, vcc_lo
	s_waitcnt lgkmcnt(1)
	global_store_dwordx2 v[10:11], v[0:1], off
	global_store_dwordx2 v[12:13], v[2:3], off
	s_waitcnt lgkmcnt(0)
	global_store_dwordx2 v[8:9], v[4:5], off
	v_lshlrev_b64 v[0:1], 3, v[14:15]
	v_add_nc_u32_e32 v2, 0x1400, v20
	v_add_nc_u32_e32 v8, 0x320, v34
	v_mov_b32_e32 v9, v35
	v_add_nc_u32_e32 v10, 0x1c00, v20
	v_add_nc_u32_e32 v4, 0x280, v34
	v_mov_b32_e32 v5, v35
	v_add_co_u32 v12, vcc_lo, v21, v0
	v_add_co_ci_u32_e32 v13, vcc_lo, v22, v1, vcc_lo
	ds_read2_b64 v[0:3], v2 offset1:160
	v_lshlrev_b64 v[14:15], 3, v[8:9]
	ds_read2_b64 v[8:11], v10 offset0:64 offset1:224
	v_lshlrev_b64 v[4:5], 3, v[4:5]
	v_add_nc_u32_e32 v16, 0x3c0, v34
	v_mov_b32_e32 v17, v35
	v_add_co_u32 v4, vcc_lo, v21, v4
	v_lshlrev_b64 v[16:17], 3, v[16:17]
	v_add_co_ci_u32_e32 v5, vcc_lo, v22, v5, vcc_lo
	v_add_co_u32 v14, vcc_lo, v21, v14
	v_add_co_ci_u32_e32 v15, vcc_lo, v22, v15, vcc_lo
	v_add_co_u32 v16, vcc_lo, v21, v16
	v_add_co_ci_u32_e32 v17, vcc_lo, v22, v17, vcc_lo
	global_store_dwordx2 v[12:13], v[6:7], off
	s_waitcnt lgkmcnt(1)
	global_store_dwordx2 v[4:5], v[0:1], off
	global_store_dwordx2 v[14:15], v[2:3], off
	s_waitcnt lgkmcnt(0)
	global_store_dwordx2 v[16:17], v[8:9], off
	v_lshlrev_b64 v[0:1], 3, v[18:19]
	v_add_nc_u32_e32 v2, 0x2800, v20
	v_add_nc_u32_e32 v4, 0x500, v34
	v_mov_b32_e32 v5, v35
	v_add_nc_u32_e32 v6, 0x5a0, v34
	v_mov_b32_e32 v7, v35
	v_add_nc_u32_e32 v17, 0x3000, v20
	v_add_co_u32 v8, vcc_lo, v21, v0
	v_add_co_ci_u32_e32 v9, vcc_lo, v22, v1, vcc_lo
	ds_read2_b64 v[0:3], v2 offset1:160
	v_lshlrev_b64 v[12:13], 3, v[4:5]
	v_lshlrev_b64 v[14:15], 3, v[6:7]
	ds_read2_b64 v[4:7], v17 offset0:64 offset1:224
	v_add_nc_u32_e32 v16, 0x640, v34
	v_mov_b32_e32 v17, v35
	v_add_nc_u32_e32 v18, 0x6e0, v34
	v_add_co_u32 v12, vcc_lo, v21, v12
	v_add_co_ci_u32_e32 v13, vcc_lo, v22, v13, vcc_lo
	v_lshlrev_b64 v[16:17], 3, v[16:17]
	v_add_co_u32 v14, vcc_lo, v21, v14
	v_add_co_ci_u32_e32 v15, vcc_lo, v22, v15, vcc_lo
	v_add_co_u32 v16, vcc_lo, v21, v16
	v_add_co_ci_u32_e32 v17, vcc_lo, v22, v17, vcc_lo
	global_store_dwordx2 v[8:9], v[10:11], off
	s_waitcnt lgkmcnt(1)
	global_store_dwordx2 v[12:13], v[0:1], off
	global_store_dwordx2 v[14:15], v[2:3], off
	s_waitcnt lgkmcnt(0)
	global_store_dwordx2 v[16:17], v[4:5], off
	v_lshlrev_b64 v[0:1], 3, v[18:19]
	v_add_nc_u32_e32 v2, 0x3c00, v20
	v_add_nc_u32_e32 v8, 0x820, v34
	v_mov_b32_e32 v9, v35
	v_add_nc_u32_e32 v10, 0x4400, v20
	v_add_nc_u32_e32 v4, 0x780, v34
	v_mov_b32_e32 v5, v35
	v_add_co_u32 v12, vcc_lo, v21, v0
	v_add_co_ci_u32_e32 v13, vcc_lo, v22, v1, vcc_lo
	ds_read2_b64 v[0:3], v2 offset1:160
	v_lshlrev_b64 v[14:15], 3, v[8:9]
	ds_read2_b64 v[8:11], v10 offset0:64 offset1:224
	v_lshlrev_b64 v[4:5], 3, v[4:5]
	v_add_nc_u32_e32 v16, 0x8c0, v34
	v_mov_b32_e32 v17, v35
	v_add_nc_u32_e32 v18, 0x960, v34
	v_add_co_u32 v4, vcc_lo, v21, v4
	v_lshlrev_b64 v[16:17], 3, v[16:17]
	v_add_co_ci_u32_e32 v5, vcc_lo, v22, v5, vcc_lo
	v_add_co_u32 v14, vcc_lo, v21, v14
	v_add_co_ci_u32_e32 v15, vcc_lo, v22, v15, vcc_lo
	v_add_co_u32 v16, vcc_lo, v21, v16
	v_add_co_ci_u32_e32 v17, vcc_lo, v22, v17, vcc_lo
	global_store_dwordx2 v[12:13], v[6:7], off
	s_waitcnt lgkmcnt(1)
	global_store_dwordx2 v[4:5], v[0:1], off
	global_store_dwordx2 v[14:15], v[2:3], off
	s_waitcnt lgkmcnt(0)
	global_store_dwordx2 v[16:17], v[8:9], off
	v_lshlrev_b64 v[0:1], 3, v[18:19]
	v_add_nc_u32_e32 v2, 0x5000, v20
	v_add_nc_u32_e32 v4, 0xa00, v34
	v_mov_b32_e32 v5, v35
	v_add_nc_u32_e32 v6, 0xaa0, v34
	v_mov_b32_e32 v7, v35
	v_add_nc_u32_e32 v18, 0x5800, v20
	v_add_co_u32 v8, vcc_lo, v21, v0
	v_add_co_ci_u32_e32 v9, vcc_lo, v22, v1, vcc_lo
	ds_read2_b64 v[0:3], v2 offset1:160
	v_lshlrev_b64 v[12:13], 3, v[4:5]
	v_lshlrev_b64 v[14:15], 3, v[6:7]
	v_add_nc_u32_e32 v16, 0xb40, v34
	v_mov_b32_e32 v17, v35
	ds_read2_b64 v[4:7], v18 offset0:64 offset1:224
	v_add_nc_u32_e32 v34, 0xbe0, v34
	v_add_co_u32 v12, vcc_lo, v21, v12
	v_lshlrev_b64 v[16:17], 3, v[16:17]
	v_add_co_ci_u32_e32 v13, vcc_lo, v22, v13, vcc_lo
	v_add_co_u32 v14, vcc_lo, v21, v14
	v_lshlrev_b64 v[18:19], 3, v[34:35]
	v_add_co_ci_u32_e32 v15, vcc_lo, v22, v15, vcc_lo
	v_add_co_u32 v16, vcc_lo, v21, v16
	v_add_co_ci_u32_e32 v17, vcc_lo, v22, v17, vcc_lo
	v_add_co_u32 v18, vcc_lo, v21, v18
	v_add_co_ci_u32_e32 v19, vcc_lo, v22, v19, vcc_lo
	global_store_dwordx2 v[8:9], v[10:11], off
	s_waitcnt lgkmcnt(1)
	global_store_dwordx2 v[12:13], v[0:1], off
	global_store_dwordx2 v[14:15], v[2:3], off
	s_waitcnt lgkmcnt(0)
	global_store_dwordx2 v[16:17], v[4:5], off
	global_store_dwordx2 v[18:19], v[6:7], off
.LBB0_21:
	s_endpgm
	.section	.rodata,"a",@progbits
	.p2align	6, 0x0
	.amdhsa_kernel fft_rtc_back_len3200_factors_10_10_4_4_2_wgs_160_tpt_160_halfLds_sp_op_CI_CI_unitstride_sbrr_C2R_dirReg
		.amdhsa_group_segment_fixed_size 0
		.amdhsa_private_segment_fixed_size 0
		.amdhsa_kernarg_size 104
		.amdhsa_user_sgpr_count 6
		.amdhsa_user_sgpr_private_segment_buffer 1
		.amdhsa_user_sgpr_dispatch_ptr 0
		.amdhsa_user_sgpr_queue_ptr 0
		.amdhsa_user_sgpr_kernarg_segment_ptr 1
		.amdhsa_user_sgpr_dispatch_id 0
		.amdhsa_user_sgpr_flat_scratch_init 0
		.amdhsa_user_sgpr_private_segment_size 0
		.amdhsa_wavefront_size32 1
		.amdhsa_uses_dynamic_stack 0
		.amdhsa_system_sgpr_private_segment_wavefront_offset 0
		.amdhsa_system_sgpr_workgroup_id_x 1
		.amdhsa_system_sgpr_workgroup_id_y 0
		.amdhsa_system_sgpr_workgroup_id_z 0
		.amdhsa_system_sgpr_workgroup_info 0
		.amdhsa_system_vgpr_workitem_id 0
		.amdhsa_next_free_vgpr 128
		.amdhsa_next_free_sgpr 27
		.amdhsa_reserve_vcc 1
		.amdhsa_reserve_flat_scratch 0
		.amdhsa_float_round_mode_32 0
		.amdhsa_float_round_mode_16_64 0
		.amdhsa_float_denorm_mode_32 3
		.amdhsa_float_denorm_mode_16_64 3
		.amdhsa_dx10_clamp 1
		.amdhsa_ieee_mode 1
		.amdhsa_fp16_overflow 0
		.amdhsa_workgroup_processor_mode 1
		.amdhsa_memory_ordered 1
		.amdhsa_forward_progress 0
		.amdhsa_shared_vgpr_count 0
		.amdhsa_exception_fp_ieee_invalid_op 0
		.amdhsa_exception_fp_denorm_src 0
		.amdhsa_exception_fp_ieee_div_zero 0
		.amdhsa_exception_fp_ieee_overflow 0
		.amdhsa_exception_fp_ieee_underflow 0
		.amdhsa_exception_fp_ieee_inexact 0
		.amdhsa_exception_int_div_zero 0
	.end_amdhsa_kernel
	.text
.Lfunc_end0:
	.size	fft_rtc_back_len3200_factors_10_10_4_4_2_wgs_160_tpt_160_halfLds_sp_op_CI_CI_unitstride_sbrr_C2R_dirReg, .Lfunc_end0-fft_rtc_back_len3200_factors_10_10_4_4_2_wgs_160_tpt_160_halfLds_sp_op_CI_CI_unitstride_sbrr_C2R_dirReg
                                        ; -- End function
	.section	.AMDGPU.csdata,"",@progbits
; Kernel info:
; codeLenInByte = 13228
; NumSgprs: 29
; NumVgprs: 128
; ScratchSize: 0
; MemoryBound: 0
; FloatMode: 240
; IeeeMode: 1
; LDSByteSize: 0 bytes/workgroup (compile time only)
; SGPRBlocks: 3
; VGPRBlocks: 15
; NumSGPRsForWavesPerEU: 29
; NumVGPRsForWavesPerEU: 128
; Occupancy: 8
; WaveLimiterHint : 1
; COMPUTE_PGM_RSRC2:SCRATCH_EN: 0
; COMPUTE_PGM_RSRC2:USER_SGPR: 6
; COMPUTE_PGM_RSRC2:TRAP_HANDLER: 0
; COMPUTE_PGM_RSRC2:TGID_X_EN: 1
; COMPUTE_PGM_RSRC2:TGID_Y_EN: 0
; COMPUTE_PGM_RSRC2:TGID_Z_EN: 0
; COMPUTE_PGM_RSRC2:TIDIG_COMP_CNT: 0
	.text
	.p2alignl 6, 3214868480
	.fill 48, 4, 3214868480
	.type	__hip_cuid_a6716b82a9afa388,@object ; @__hip_cuid_a6716b82a9afa388
	.section	.bss,"aw",@nobits
	.globl	__hip_cuid_a6716b82a9afa388
__hip_cuid_a6716b82a9afa388:
	.byte	0                               ; 0x0
	.size	__hip_cuid_a6716b82a9afa388, 1

	.ident	"AMD clang version 19.0.0git (https://github.com/RadeonOpenCompute/llvm-project roc-6.4.0 25133 c7fe45cf4b819c5991fe208aaa96edf142730f1d)"
	.section	".note.GNU-stack","",@progbits
	.addrsig
	.addrsig_sym __hip_cuid_a6716b82a9afa388
	.amdgpu_metadata
---
amdhsa.kernels:
  - .args:
      - .actual_access:  read_only
        .address_space:  global
        .offset:         0
        .size:           8
        .value_kind:     global_buffer
      - .offset:         8
        .size:           8
        .value_kind:     by_value
      - .actual_access:  read_only
        .address_space:  global
        .offset:         16
        .size:           8
        .value_kind:     global_buffer
      - .actual_access:  read_only
        .address_space:  global
        .offset:         24
        .size:           8
        .value_kind:     global_buffer
      - .actual_access:  read_only
        .address_space:  global
        .offset:         32
        .size:           8
        .value_kind:     global_buffer
      - .offset:         40
        .size:           8
        .value_kind:     by_value
      - .actual_access:  read_only
        .address_space:  global
        .offset:         48
        .size:           8
        .value_kind:     global_buffer
      - .actual_access:  read_only
        .address_space:  global
        .offset:         56
        .size:           8
        .value_kind:     global_buffer
      - .offset:         64
        .size:           4
        .value_kind:     by_value
      - .actual_access:  read_only
        .address_space:  global
        .offset:         72
        .size:           8
        .value_kind:     global_buffer
      - .actual_access:  read_only
        .address_space:  global
        .offset:         80
        .size:           8
        .value_kind:     global_buffer
      - .actual_access:  read_only
        .address_space:  global
        .offset:         88
        .size:           8
        .value_kind:     global_buffer
      - .actual_access:  write_only
        .address_space:  global
        .offset:         96
        .size:           8
        .value_kind:     global_buffer
    .group_segment_fixed_size: 0
    .kernarg_segment_align: 8
    .kernarg_segment_size: 104
    .language:       OpenCL C
    .language_version:
      - 2
      - 0
    .max_flat_workgroup_size: 160
    .name:           fft_rtc_back_len3200_factors_10_10_4_4_2_wgs_160_tpt_160_halfLds_sp_op_CI_CI_unitstride_sbrr_C2R_dirReg
    .private_segment_fixed_size: 0
    .sgpr_count:     29
    .sgpr_spill_count: 0
    .symbol:         fft_rtc_back_len3200_factors_10_10_4_4_2_wgs_160_tpt_160_halfLds_sp_op_CI_CI_unitstride_sbrr_C2R_dirReg.kd
    .uniform_work_group_size: 1
    .uses_dynamic_stack: false
    .vgpr_count:     128
    .vgpr_spill_count: 0
    .wavefront_size: 32
    .workgroup_processor_mode: 1
amdhsa.target:   amdgcn-amd-amdhsa--gfx1030
amdhsa.version:
  - 1
  - 2
...

	.end_amdgpu_metadata
